;; amdgpu-corpus repo=ROCm/rocFFT kind=compiled arch=gfx1030 opt=O3
	.text
	.amdgcn_target "amdgcn-amd-amdhsa--gfx1030"
	.amdhsa_code_object_version 6
	.protected	fft_rtc_back_len3125_factors_5_5_5_5_5_wgs_125_tpt_125_halfLds_dp_op_CI_CI_unitstride_sbrr_dirReg ; -- Begin function fft_rtc_back_len3125_factors_5_5_5_5_5_wgs_125_tpt_125_halfLds_dp_op_CI_CI_unitstride_sbrr_dirReg
	.globl	fft_rtc_back_len3125_factors_5_5_5_5_5_wgs_125_tpt_125_halfLds_dp_op_CI_CI_unitstride_sbrr_dirReg
	.p2align	8
	.type	fft_rtc_back_len3125_factors_5_5_5_5_5_wgs_125_tpt_125_halfLds_dp_op_CI_CI_unitstride_sbrr_dirReg,@function
fft_rtc_back_len3125_factors_5_5_5_5_5_wgs_125_tpt_125_halfLds_dp_op_CI_CI_unitstride_sbrr_dirReg: ; @fft_rtc_back_len3125_factors_5_5_5_5_5_wgs_125_tpt_125_halfLds_dp_op_CI_CI_unitstride_sbrr_dirReg
; %bb.0:
	s_clause 0x2
	s_load_dwordx4 s[12:15], s[4:5], 0x0
	s_load_dwordx4 s[8:11], s[4:5], 0x58
	;; [unrolled: 1-line block ×3, first 2 shown]
	v_mul_u32_u24_e32 v2, 0x20d, v0
	v_mov_b32_e32 v1, 0
	v_mov_b32_e32 v4, 0
	;; [unrolled: 1-line block ×3, first 2 shown]
	v_add_nc_u32_sdwa v6, s6, v2 dst_sel:DWORD dst_unused:UNUSED_PAD src0_sel:DWORD src1_sel:WORD_1
	v_mov_b32_e32 v7, v1
	s_waitcnt lgkmcnt(0)
	v_cmp_lt_u64_e64 s0, s[14:15], 2
	s_and_b32 vcc_lo, exec_lo, s0
	s_cbranch_vccnz .LBB0_8
; %bb.1:
	s_load_dwordx2 s[0:1], s[4:5], 0x10
	v_mov_b32_e32 v4, 0
	v_mov_b32_e32 v5, 0
	s_add_u32 s2, s18, 8
	s_addc_u32 s3, s19, 0
	s_add_u32 s6, s16, 8
	s_addc_u32 s7, s17, 0
	v_mov_b32_e32 v129, v5
	v_mov_b32_e32 v128, v4
	s_mov_b64 s[22:23], 1
	s_waitcnt lgkmcnt(0)
	s_add_u32 s20, s0, 8
	s_addc_u32 s21, s1, 0
.LBB0_2:                                ; =>This Inner Loop Header: Depth=1
	s_load_dwordx2 s[24:25], s[20:21], 0x0
                                        ; implicit-def: $vgpr130_vgpr131
	s_mov_b32 s0, exec_lo
	s_waitcnt lgkmcnt(0)
	v_or_b32_e32 v2, s25, v7
	v_cmpx_ne_u64_e32 0, v[1:2]
	s_xor_b32 s1, exec_lo, s0
	s_cbranch_execz .LBB0_4
; %bb.3:                                ;   in Loop: Header=BB0_2 Depth=1
	v_cvt_f32_u32_e32 v2, s24
	v_cvt_f32_u32_e32 v3, s25
	s_sub_u32 s0, 0, s24
	s_subb_u32 s26, 0, s25
	v_fmac_f32_e32 v2, 0x4f800000, v3
	v_rcp_f32_e32 v2, v2
	v_mul_f32_e32 v2, 0x5f7ffffc, v2
	v_mul_f32_e32 v3, 0x2f800000, v2
	v_trunc_f32_e32 v3, v3
	v_fmac_f32_e32 v2, 0xcf800000, v3
	v_cvt_u32_f32_e32 v3, v3
	v_cvt_u32_f32_e32 v2, v2
	v_mul_lo_u32 v8, s0, v3
	v_mul_hi_u32 v9, s0, v2
	v_mul_lo_u32 v10, s26, v2
	v_add_nc_u32_e32 v8, v9, v8
	v_mul_lo_u32 v9, s0, v2
	v_add_nc_u32_e32 v8, v8, v10
	v_mul_hi_u32 v10, v2, v9
	v_mul_lo_u32 v11, v2, v8
	v_mul_hi_u32 v12, v2, v8
	v_mul_hi_u32 v13, v3, v9
	v_mul_lo_u32 v9, v3, v9
	v_mul_hi_u32 v14, v3, v8
	v_mul_lo_u32 v8, v3, v8
	v_add_co_u32 v10, vcc_lo, v10, v11
	v_add_co_ci_u32_e32 v11, vcc_lo, 0, v12, vcc_lo
	v_add_co_u32 v9, vcc_lo, v10, v9
	v_add_co_ci_u32_e32 v9, vcc_lo, v11, v13, vcc_lo
	v_add_co_ci_u32_e32 v10, vcc_lo, 0, v14, vcc_lo
	v_add_co_u32 v8, vcc_lo, v9, v8
	v_add_co_ci_u32_e32 v9, vcc_lo, 0, v10, vcc_lo
	v_add_co_u32 v2, vcc_lo, v2, v8
	v_add_co_ci_u32_e32 v3, vcc_lo, v3, v9, vcc_lo
	v_mul_hi_u32 v8, s0, v2
	v_mul_lo_u32 v10, s26, v2
	v_mul_lo_u32 v9, s0, v3
	v_add_nc_u32_e32 v8, v8, v9
	v_mul_lo_u32 v9, s0, v2
	v_add_nc_u32_e32 v8, v8, v10
	v_mul_hi_u32 v10, v2, v9
	v_mul_lo_u32 v11, v2, v8
	v_mul_hi_u32 v12, v2, v8
	v_mul_hi_u32 v13, v3, v9
	v_mul_lo_u32 v9, v3, v9
	v_mul_hi_u32 v14, v3, v8
	v_mul_lo_u32 v8, v3, v8
	v_add_co_u32 v10, vcc_lo, v10, v11
	v_add_co_ci_u32_e32 v11, vcc_lo, 0, v12, vcc_lo
	v_add_co_u32 v9, vcc_lo, v10, v9
	v_add_co_ci_u32_e32 v9, vcc_lo, v11, v13, vcc_lo
	v_add_co_ci_u32_e32 v10, vcc_lo, 0, v14, vcc_lo
	v_add_co_u32 v8, vcc_lo, v9, v8
	v_add_co_ci_u32_e32 v9, vcc_lo, 0, v10, vcc_lo
	v_add_co_u32 v8, vcc_lo, v2, v8
	v_add_co_ci_u32_e32 v10, vcc_lo, v3, v9, vcc_lo
	v_mul_hi_u32 v12, v6, v8
	v_mad_u64_u32 v[8:9], null, v7, v8, 0
	v_mad_u64_u32 v[2:3], null, v6, v10, 0
	;; [unrolled: 1-line block ×3, first 2 shown]
	v_add_co_u32 v2, vcc_lo, v12, v2
	v_add_co_ci_u32_e32 v3, vcc_lo, 0, v3, vcc_lo
	v_add_co_u32 v2, vcc_lo, v2, v8
	v_add_co_ci_u32_e32 v2, vcc_lo, v3, v9, vcc_lo
	v_add_co_ci_u32_e32 v3, vcc_lo, 0, v11, vcc_lo
	v_add_co_u32 v8, vcc_lo, v2, v10
	v_add_co_ci_u32_e32 v9, vcc_lo, 0, v3, vcc_lo
	v_mul_lo_u32 v10, s25, v8
	v_mad_u64_u32 v[2:3], null, s24, v8, 0
	v_mul_lo_u32 v11, s24, v9
	v_sub_co_u32 v2, vcc_lo, v6, v2
	v_add3_u32 v3, v3, v11, v10
	v_sub_nc_u32_e32 v10, v7, v3
	v_subrev_co_ci_u32_e64 v10, s0, s25, v10, vcc_lo
	v_add_co_u32 v11, s0, v8, 2
	v_add_co_ci_u32_e64 v12, s0, 0, v9, s0
	v_sub_co_u32 v13, s0, v2, s24
	v_sub_co_ci_u32_e32 v3, vcc_lo, v7, v3, vcc_lo
	v_subrev_co_ci_u32_e64 v10, s0, 0, v10, s0
	v_cmp_le_u32_e32 vcc_lo, s24, v13
	v_cmp_eq_u32_e64 s0, s25, v3
	v_cndmask_b32_e64 v13, 0, -1, vcc_lo
	v_cmp_le_u32_e32 vcc_lo, s25, v10
	v_cndmask_b32_e64 v14, 0, -1, vcc_lo
	v_cmp_le_u32_e32 vcc_lo, s24, v2
	;; [unrolled: 2-line block ×3, first 2 shown]
	v_cndmask_b32_e64 v15, 0, -1, vcc_lo
	v_cmp_eq_u32_e32 vcc_lo, s25, v10
	v_cndmask_b32_e64 v2, v15, v2, s0
	v_cndmask_b32_e32 v10, v14, v13, vcc_lo
	v_add_co_u32 v13, vcc_lo, v8, 1
	v_add_co_ci_u32_e32 v14, vcc_lo, 0, v9, vcc_lo
	v_cmp_ne_u32_e32 vcc_lo, 0, v10
	v_cndmask_b32_e32 v3, v14, v12, vcc_lo
	v_cndmask_b32_e32 v10, v13, v11, vcc_lo
	v_cmp_ne_u32_e32 vcc_lo, 0, v2
	v_cndmask_b32_e32 v131, v9, v3, vcc_lo
	v_cndmask_b32_e32 v130, v8, v10, vcc_lo
.LBB0_4:                                ;   in Loop: Header=BB0_2 Depth=1
	s_andn2_saveexec_b32 s0, s1
	s_cbranch_execz .LBB0_6
; %bb.5:                                ;   in Loop: Header=BB0_2 Depth=1
	v_cvt_f32_u32_e32 v2, s24
	s_sub_i32 s1, 0, s24
	v_mov_b32_e32 v131, v1
	v_rcp_iflag_f32_e32 v2, v2
	v_mul_f32_e32 v2, 0x4f7ffffe, v2
	v_cvt_u32_f32_e32 v2, v2
	v_mul_lo_u32 v3, s1, v2
	v_mul_hi_u32 v3, v2, v3
	v_add_nc_u32_e32 v2, v2, v3
	v_mul_hi_u32 v2, v6, v2
	v_mul_lo_u32 v3, v2, s24
	v_add_nc_u32_e32 v8, 1, v2
	v_sub_nc_u32_e32 v3, v6, v3
	v_subrev_nc_u32_e32 v9, s24, v3
	v_cmp_le_u32_e32 vcc_lo, s24, v3
	v_cndmask_b32_e32 v3, v3, v9, vcc_lo
	v_cndmask_b32_e32 v2, v2, v8, vcc_lo
	v_cmp_le_u32_e32 vcc_lo, s24, v3
	v_add_nc_u32_e32 v8, 1, v2
	v_cndmask_b32_e32 v130, v2, v8, vcc_lo
.LBB0_6:                                ;   in Loop: Header=BB0_2 Depth=1
	s_or_b32 exec_lo, exec_lo, s0
	v_mul_lo_u32 v8, v131, s24
	v_mul_lo_u32 v9, v130, s25
	s_load_dwordx2 s[0:1], s[6:7], 0x0
	v_mad_u64_u32 v[2:3], null, v130, s24, 0
	s_load_dwordx2 s[24:25], s[2:3], 0x0
	s_add_u32 s22, s22, 1
	s_addc_u32 s23, s23, 0
	s_add_u32 s2, s2, 8
	s_addc_u32 s3, s3, 0
	s_add_u32 s6, s6, 8
	v_add3_u32 v3, v3, v9, v8
	v_sub_co_u32 v2, vcc_lo, v6, v2
	s_addc_u32 s7, s7, 0
	s_add_u32 s20, s20, 8
	v_sub_co_ci_u32_e32 v3, vcc_lo, v7, v3, vcc_lo
	s_addc_u32 s21, s21, 0
	s_waitcnt lgkmcnt(0)
	v_mul_lo_u32 v6, s0, v3
	v_mul_lo_u32 v7, s1, v2
	v_mad_u64_u32 v[4:5], null, s0, v2, v[4:5]
	v_mul_lo_u32 v3, s24, v3
	v_mul_lo_u32 v8, s25, v2
	v_mad_u64_u32 v[128:129], null, s24, v2, v[128:129]
	v_cmp_ge_u64_e64 s0, s[22:23], s[14:15]
	v_add3_u32 v5, v7, v5, v6
	v_add3_u32 v129, v8, v129, v3
	s_and_b32 vcc_lo, exec_lo, s0
	s_cbranch_vccnz .LBB0_9
; %bb.7:                                ;   in Loop: Header=BB0_2 Depth=1
	v_mov_b32_e32 v6, v130
	v_mov_b32_e32 v7, v131
	s_branch .LBB0_2
.LBB0_8:
	v_mov_b32_e32 v129, v5
	v_mov_b32_e32 v131, v7
	;; [unrolled: 1-line block ×4, first 2 shown]
.LBB0_9:
	s_load_dwordx2 s[0:1], s[4:5], 0x28
	v_mul_hi_u32 v1, 0x20c49bb, v0
	s_lshl_b64 s[2:3], s[14:15], 3
                                        ; implicit-def: $vgpr136
	s_add_u32 s18, s18, s2
	s_addc_u32 s19, s19, s3
	s_waitcnt lgkmcnt(0)
	v_cmp_gt_u64_e32 vcc_lo, s[0:1], v[130:131]
	v_cmp_le_u64_e64 s0, s[0:1], v[130:131]
	s_and_saveexec_b32 s1, s0
	s_xor_b32 s0, exec_lo, s1
; %bb.10:
	v_mul_u32_u24_e32 v1, 0x7d, v1
                                        ; implicit-def: $vgpr4_vgpr5
	v_sub_nc_u32_e32 v136, v0, v1
                                        ; implicit-def: $vgpr1
                                        ; implicit-def: $vgpr0
; %bb.11:
	s_or_saveexec_b32 s1, s0
                                        ; implicit-def: $vgpr26_vgpr27
                                        ; implicit-def: $vgpr38_vgpr39
                                        ; implicit-def: $vgpr46_vgpr47
                                        ; implicit-def: $vgpr42_vgpr43
                                        ; implicit-def: $vgpr74_vgpr75
                                        ; implicit-def: $vgpr30_vgpr31
                                        ; implicit-def: $vgpr62_vgpr63
                                        ; implicit-def: $vgpr70_vgpr71
                                        ; implicit-def: $vgpr66_vgpr67
                                        ; implicit-def: $vgpr78_vgpr79
                                        ; implicit-def: $vgpr34_vgpr35
                                        ; implicit-def: $vgpr82_vgpr83
                                        ; implicit-def: $vgpr90_vgpr91
                                        ; implicit-def: $vgpr86_vgpr87
                                        ; implicit-def: $vgpr94_vgpr95
                                        ; implicit-def: $vgpr14_vgpr15
                                        ; implicit-def: $vgpr50_vgpr51
                                        ; implicit-def: $vgpr54_vgpr55
                                        ; implicit-def: $vgpr58_vgpr59
                                        ; implicit-def: $vgpr6_vgpr7
                                        ; implicit-def: $vgpr2_vgpr3
                                        ; implicit-def: $vgpr10_vgpr11
                                        ; implicit-def: $vgpr22_vgpr23
                                        ; implicit-def: $vgpr18_vgpr19
                                        ; implicit-def: $vgpr98_vgpr99
	s_xor_b32 exec_lo, exec_lo, s1
	s_cbranch_execz .LBB0_13
; %bb.12:
	s_add_u32 s2, s16, s2
	s_addc_u32 s3, s17, s3
	s_load_dwordx2 s[2:3], s[2:3], 0x0
	s_waitcnt lgkmcnt(0)
	v_mul_lo_u32 v6, s3, v130
	v_mul_lo_u32 v7, s2, v131
	v_mad_u64_u32 v[2:3], null, s2, v130, 0
	v_add3_u32 v3, v3, v7, v6
	v_mul_u32_u24_e32 v6, 0x7d, v1
	v_lshlrev_b64 v[1:2], 4, v[2:3]
	v_lshlrev_b64 v[3:4], 4, v[4:5]
	v_sub_nc_u32_e32 v136, v0, v6
	v_add_co_u32 v0, s0, s8, v1
	v_add_co_ci_u32_e64 v1, s0, s9, v2, s0
	v_lshlrev_b32_e32 v2, 4, v136
	v_add_co_u32 v0, s0, v0, v3
	v_add_co_ci_u32_e64 v1, s0, v1, v4, s0
	v_add_co_u32 v4, s0, v0, v2
	v_add_co_ci_u32_e64 v5, s0, 0, v1, s0
	;; [unrolled: 2-line block ×24, first 2 shown]
	v_add_co_u32 v106, s0, 0xb800, v4
	s_clause 0x3
	global_load_dwordx4 v[16:19], v[0:1], off offset:1808
	global_load_dwordx4 v[20:23], v[2:3], off offset:1568
	global_load_dwordx4 v[8:11], v[6:7], off offset:1328
	global_load_dwordx4 v[0:3], v[12:13], off offset:1088
	v_add_co_ci_u32_e64 v107, s0, 0, v5, s0
	s_clause 0x14
	global_load_dwordx4 v[96:99], v[4:5], off
	global_load_dwordx4 v[4:7], v[4:5], off offset:2000
	global_load_dwordx4 v[56:59], v[14:15], off offset:1760
	;; [unrolled: 1-line block ×20, first 2 shown]
.LBB0_13:
	s_or_b32 exec_lo, exec_lo, s1
	s_waitcnt vmcnt(22)
	v_add_f64 v[104:105], v[8:9], v[20:21]
	s_waitcnt vmcnt(20)
	v_add_f64 v[106:107], v[16:17], v[96:97]
	v_add_f64 v[102:103], v[18:19], -v[2:3]
	v_add_f64 v[116:117], v[0:1], v[16:17]
	s_waitcnt vmcnt(18)
	v_add_f64 v[108:109], v[56:57], v[4:5]
	s_mov_b32 s2, 0x134454ff
	s_mov_b32 s3, 0xbfee6f0e
	v_add_f64 v[110:111], v[58:59], v[6:7]
	v_add_f64 v[112:113], v[16:17], -v[20:21]
	v_add_f64 v[114:115], v[0:1], -v[8:9]
	;; [unrolled: 1-line block ×3, first 2 shown]
	s_waitcnt vmcnt(16)
	v_add_f64 v[118:119], v[48:49], v[52:53]
	v_add_f64 v[122:123], v[56:57], -v[52:53]
	v_add_f64 v[124:125], v[52:53], -v[56:57]
	v_add_f64 v[132:133], v[52:53], -v[48:49]
	s_mov_b32 s6, 0x4755a5e
	s_mov_b32 s7, 0xbfe2cf23
	;; [unrolled: 1-line block ×4, first 2 shown]
	s_waitcnt vmcnt(15)
	v_add_f64 v[147:148], v[12:13], -v[48:49]
	v_add_f64 v[150:151], v[12:13], v[56:57]
	s_waitcnt vmcnt(5)
	v_add_f64 v[178:179], v[28:29], v[64:65]
	v_fma_f64 v[139:140], v[104:105], -0.5, v[96:97]
	v_add_f64 v[106:107], v[20:21], v[106:107]
	v_add_f64 v[120:121], v[54:55], -v[50:51]
	v_fma_f64 v[96:97], v[116:117], -0.5, v[96:97]
	v_add_f64 v[52:53], v[52:53], v[108:109]
	v_add_f64 v[108:109], v[32:33], v[84:85]
	;; [unrolled: 1-line block ×3, first 2 shown]
	v_add_f64 v[137:138], v[58:59], -v[54:55]
	v_add_f64 v[104:105], v[54:55], -v[58:59]
	;; [unrolled: 1-line block ×6, first 2 shown]
	v_add_f64 v[56:57], v[14:15], v[58:59]
	v_add_f64 v[58:59], v[48:49], -v[12:13]
	v_add_f64 v[54:55], v[54:55], v[110:111]
	v_add_f64 v[186:187], v[60:61], v[68:69]
	;; [unrolled: 1-line block ×4, first 2 shown]
	v_add_f64 v[156:157], v[84:85], -v[88:89]
	v_add_f64 v[158:159], v[32:33], -v[80:81]
	s_waitcnt vmcnt(0)
	v_add_f64 v[188:189], v[24:25], v[40:41]
	v_fma_f64 v[166:167], v[102:103], s[2:3], v[139:140]
	v_add_f64 v[106:107], v[8:9], v[106:107]
	s_mov_b32 s4, 0x372fe950
	v_fma_f64 v[114:115], v[100:101], s[8:9], v[96:97]
	v_fma_f64 v[96:97], v[100:101], s[2:3], v[96:97]
	v_add_f64 v[48:49], v[48:49], v[52:53]
	v_add_f64 v[52:53], v[36:37], v[44:45]
	s_mov_b32 s5, 0x3fd3c6ef
	s_mov_b32 s15, 0x3fe2cf23
	;; [unrolled: 1-line block ×3, first 2 shown]
	v_add_f64 v[164:165], v[64:65], -v[68:69]
	v_add_f64 v[116:117], v[28:29], -v[60:61]
	;; [unrolled: 1-line block ×6, first 2 shown]
	v_add_f64 v[122:123], v[147:148], v[122:123]
	v_add_f64 v[147:148], v[84:85], v[92:93]
	v_fma_f64 v[150:151], v[150:151], -0.5, v[4:5]
	v_fma_f64 v[108:109], v[108:109], -0.5, v[92:93]
	;; [unrolled: 1-line block ×4, first 2 shown]
	v_fma_f64 v[166:167], v[100:101], s[6:7], v[166:167]
	v_add_f64 v[152:153], v[14:15], -v[50:51]
	v_add_f64 v[154:155], v[50:51], -v[14:15]
	v_add_f64 v[160:161], v[88:89], -v[84:85]
	v_add_f64 v[162:163], v[80:81], -v[32:33]
	v_add_f64 v[170:171], v[44:45], -v[40:41]
	v_add_f64 v[172:173], v[36:37], -v[24:25]
	v_add_f64 v[182:183], v[66:67], -v[30:31]
	v_add_f64 v[50:51], v[50:51], v[54:55]
	v_add_f64 v[141:142], v[143:144], v[141:142]
	;; [unrolled: 1-line block ×5, first 2 shown]
	v_fma_f64 v[114:115], v[102:103], s[6:7], v[114:115]
	v_fma_f64 v[96:97], v[102:103], s[14:15], v[96:97]
	v_fma_f64 v[76:77], v[186:187], -0.5, v[76:77]
	v_add_f64 v[176:177], v[86:87], -v[34:35]
	v_fma_f64 v[92:93], v[184:185], -0.5, v[92:93]
	v_add_f64 v[143:144], v[42:43], -v[26:27]
	v_add_f64 v[156:157], v[158:159], v[156:157]
	v_add_f64 v[158:159], v[40:41], v[72:73]
	v_fma_f64 v[52:53], v[52:53], -0.5, v[72:73]
	v_fma_f64 v[166:167], v[112:113], s[4:5], v[166:167]
	v_add_f64 v[54:55], v[46:47], -v[38:39]
	v_fma_f64 v[178:179], v[188:189], -0.5, v[72:73]
	v_mad_u32_u24 v149, v136, 40, 0
	v_add_f64 v[116:117], v[116:117], v[164:165]
	v_add_f64 v[110:111], v[168:169], v[110:111]
	;; [unrolled: 1-line block ×3, first 2 shown]
	v_fma_f64 v[147:148], v[120:121], s[8:9], v[150:151]
	v_fma_f64 v[150:151], v[120:121], s[2:3], v[150:151]
	;; [unrolled: 1-line block ×7, first 2 shown]
	v_add_f64 v[160:161], v[162:163], v[160:161]
	v_add_f64 v[162:163], v[172:173], v[170:171]
	;; [unrolled: 1-line block ×4, first 2 shown]
	v_fma_f64 v[14:15], v[141:142], s[4:5], v[114:115]
	v_fma_f64 v[48:49], v[141:142], s[4:5], v[96:97]
	v_add_f64 v[114:115], v[40:41], -v[44:45]
	v_add_f64 v[141:142], v[24:25], -v[36:37]
	ds_write2_b64 v149, v[106:107], v[166:167] offset1:1
	v_fma_f64 v[106:107], v[182:183], s[2:3], v[76:77]
	v_add_f64 v[124:125], v[68:69], v[124:125]
	v_fma_f64 v[118:119], v[180:181], s[2:3], v[118:119]
	v_fma_f64 v[170:171], v[176:177], s[2:3], v[92:93]
	;; [unrolled: 1-line block ×3, first 2 shown]
	v_add_f64 v[158:159], v[44:45], v[158:159]
	v_fma_f64 v[50:51], v[54:55], s[8:9], v[178:179]
	v_fma_f64 v[96:97], v[54:55], s[2:3], v[178:179]
	v_fma_f64 v[4:5], v[145:146], s[8:9], v[4:5]
	v_fma_f64 v[92:93], v[176:177], s[8:9], v[92:93]
	v_fma_f64 v[76:77], v[182:183], s[8:9], v[76:77]
	v_fma_f64 v[52:53], v[143:144], s[8:9], v[52:53]
	v_fma_f64 v[147:148], v[145:146], s[6:7], v[147:148]
	v_fma_f64 v[145:146], v[145:146], s[14:15], v[150:151]
	v_fma_f64 v[150:151], v[176:177], s[6:7], v[164:165]
	v_fma_f64 v[108:109], v[176:177], s[14:15], v[108:109]
	v_fma_f64 v[164:165], v[182:183], s[6:7], v[168:169]
	v_fma_f64 v[168:169], v[126:127], -0.5, v[6:7]
	v_fma_f64 v[126:127], v[120:121], s[6:7], v[139:140]
	v_fma_f64 v[100:101], v[100:101], s[14:15], v[102:103]
	v_add_f64 v[72:73], v[80:81], v[72:73]
	ds_write2_b64 v149, v[14:15], v[48:49] offset0:2 offset1:3
	v_fma_f64 v[102:103], v[180:181], s[6:7], v[106:107]
	v_add_f64 v[106:107], v[141:142], v[114:115]
	v_add_f64 v[114:115], v[60:61], v[124:125]
	v_fma_f64 v[139:140], v[174:175], s[6:7], v[170:171]
	v_fma_f64 v[118:119], v[182:183], s[14:15], v[118:119]
	;; [unrolled: 1-line block ×3, first 2 shown]
	v_add_f64 v[141:142], v[36:37], v[158:159]
	v_fma_f64 v[50:51], v[143:144], s[6:7], v[50:51]
	v_fma_f64 v[96:97], v[143:144], s[14:15], v[96:97]
	;; [unrolled: 1-line block ×12, first 2 shown]
	v_fma_f64 v[6:7], v[56:57], -0.5, v[6:7]
	v_fma_f64 v[100:101], v[112:113], s[4:5], v[100:101]
	v_add_f64 v[72:73], v[32:33], v[72:73]
	v_fma_f64 v[102:103], v[116:117], s[4:5], v[102:103]
	v_add_nc_u32_e32 v158, 0x1388, v149
	v_add_f64 v[112:113], v[28:29], v[114:115]
	v_fma_f64 v[126:127], v[156:157], s[4:5], v[139:140]
	v_fma_f64 v[139:140], v[110:111], s[4:5], v[164:165]
	;; [unrolled: 1-line block ×4, first 2 shown]
	v_add_f64 v[118:119], v[24:25], v[141:142]
	v_fma_f64 v[50:51], v[162:163], s[4:5], v[50:51]
	v_fma_f64 v[96:97], v[162:163], s[4:5], v[96:97]
	;; [unrolled: 1-line block ×3, first 2 shown]
	v_add_nc_u32_e32 v176, 0x2720, v149
	v_add_nc_u32_e32 v174, 0x1398, v149
	;; [unrolled: 1-line block ×7, first 2 shown]
	v_fma_f64 v[92:93], v[156:157], s[4:5], v[92:93]
	v_fma_f64 v[76:77], v[116:117], s[4:5], v[76:77]
	v_add_f64 v[150:151], v[152:153], v[137:138]
	v_fma_f64 v[56:57], v[132:133], s[14:15], v[108:109]
	ds_write2_b64 v158, v[12:13], v[120:121] offset1:1
	ds_write2_b64 v174, v[14:15], v[48:49] offset1:1
	;; [unrolled: 1-line block ×8, first 2 shown]
	ds_write_b64 v149, v[100:101] offset:32
	ds_write_b64 v149, v[4:5] offset:5032
	v_fma_f64 v[4:5], v[132:133], s[2:3], v[6:7]
	v_fma_f64 v[6:7], v[132:133], s[8:9], v[6:7]
	;; [unrolled: 1-line block ×3, first 2 shown]
	v_lshlrev_b32_e32 v12, 5, v136
	v_add_f64 v[8:9], v[20:21], -v[8:9]
	v_add_f64 v[20:21], v[2:3], v[18:19]
	v_add_f64 v[156:157], v[86:87], v[94:95]
	v_add_f64 v[0:1], v[16:17], -v[0:1]
	v_sub_nc_u32_e32 v137, v149, v12
	v_add_f64 v[12:13], v[18:19], v[98:99]
	v_add_f64 v[162:163], v[18:19], -v[22:23]
	v_add_f64 v[18:19], v[22:23], -v[18:19]
	ds_write_b64 v149, v[92:93] offset:10032
	ds_write_b64 v149, v[76:77] offset:15032
	;; [unrolled: 1-line block ×3, first 2 shown]
	v_fma_f64 v[76:77], v[150:151], s[4:5], v[56:57]
	v_add_f64 v[92:93], v[154:155], v[104:105]
	v_fma_f64 v[96:97], v[134:135], s[14:15], v[4:5]
	v_fma_f64 v[152:153], v[134:135], s[6:7], v[6:7]
	v_add_nc_u32_e32 v143, 0x400, v137
	v_add_nc_u32_e32 v144, 0x2c00, v137
	;; [unrolled: 1-line block ×8, first 2 shown]
	s_load_dwordx2 s[16:17], s[18:19], 0x0
	s_waitcnt lgkmcnt(0)
	s_barrier
	buffer_gl0_inv
	v_add_nc_u32_e32 v139, 0x4c00, v137
	v_add_nc_u32_e32 v142, 0x1400, v137
	;; [unrolled: 1-line block ×3, first 2 shown]
	ds_read_b64 v[72:73], v137 offset:24000
	ds_read2_b64 v[56:59], v137 offset1:125
	ds_read2_b64 v[4:7], v141 offset0:116 offset1:241
	ds_read2_b64 v[124:127], v138 offset0:98 offset1:223
	;; [unrolled: 1-line block ×6, first 2 shown]
	v_add_f64 v[154:155], v[22:23], v[12:13]
	ds_read2_b64 v[12:15], v143 offset0:122 offset1:247
	ds_read2_b64 v[108:111], v144 offset0:92 offset1:217
	;; [unrolled: 1-line block ×5, first 2 shown]
	s_waitcnt lgkmcnt(0)
	s_barrier
	buffer_gl0_inv
	ds_write2_b64 v158, v[172:173], v[76:77] offset1:1
	v_fma_f64 v[76:77], v[92:93], s[4:5], v[96:97]
	v_fma_f64 v[92:93], v[92:93], s[4:5], v[152:153]
	v_add_f64 v[96:97], v[66:67], v[78:79]
	v_add_f64 v[152:153], v[10:11], v[22:23]
	v_fma_f64 v[20:21], v[20:21], -0.5, v[98:99]
	v_add_f64 v[22:23], v[90:91], v[156:157]
	v_add_f64 v[156:157], v[42:43], v[74:75]
	;; [unrolled: 1-line block ×8, first 2 shown]
	v_add_f64 v[60:61], v[68:69], -v[60:61]
	v_add_f64 v[24:25], v[40:41], -v[24:25]
	;; [unrolled: 1-line block ×3, first 2 shown]
	v_add_f64 v[16:17], v[10:11], v[154:155]
	v_add_f64 v[154:155], v[2:3], -v[10:11]
	v_add_f64 v[10:11], v[10:11], -v[2:3]
	;; [unrolled: 1-line block ×7, first 2 shown]
	v_add_f64 v[96:97], v[70:71], v[96:97]
	v_fma_f64 v[152:153], v[152:153], -0.5, v[98:99]
	v_add_f64 v[32:33], v[84:85], -v[32:33]
	v_add_f64 v[28:29], v[64:65], -v[28:29]
	v_add_f64 v[90:91], v[46:47], v[156:157]
	v_fma_f64 v[98:99], v[158:159], -0.5, v[94:95]
	v_fma_f64 v[156:157], v[164:165], -0.5, v[78:79]
	;; [unrolled: 1-line block ×3, first 2 shown]
	v_fma_f64 v[134:135], v[134:135], s[2:3], v[168:169]
	v_fma_f64 v[94:95], v[160:161], -0.5, v[94:95]
	v_fma_f64 v[78:79], v[166:167], -0.5, v[78:79]
	;; [unrolled: 1-line block ×3, first 2 shown]
	v_add_f64 v[84:85], v[34:35], -v[82:83]
	v_add_f64 v[64:65], v[66:67], -v[70:71]
	;; [unrolled: 1-line block ×3, first 2 shown]
	v_add_f64 v[154:155], v[154:155], v[162:163]
	v_add_f64 v[10:11], v[10:11], v[18:19]
	v_add_f64 v[70:71], v[30:31], -v[62:63]
	v_add_f64 v[160:161], v[26:27], -v[38:39]
	v_add_f64 v[22:23], v[82:83], v[22:23]
	v_add_f64 v[82:83], v[82:83], -v[34:35]
	v_add_f64 v[2:3], v[2:3], v[16:17]
	v_add_f64 v[68:69], v[62:63], v[96:97]
	v_fma_f64 v[96:97], v[8:9], s[2:3], v[20:21]
	v_fma_f64 v[20:21], v[8:9], s[8:9], v[20:21]
	;; [unrolled: 1-line block ×4, first 2 shown]
	v_add_f64 v[90:91], v[38:39], v[90:91]
	v_fma_f64 v[152:153], v[32:33], s[8:9], v[98:99]
	v_add_f64 v[38:39], v[38:39], -v[26:27]
	v_fma_f64 v[166:167], v[28:29], s[8:9], v[156:157]
	v_add_f64 v[62:63], v[62:63], -v[30:31]
	v_fma_f64 v[164:165], v[80:81], s[2:3], v[94:95]
	v_fma_f64 v[94:95], v[80:81], s[8:9], v[94:95]
	;; [unrolled: 1-line block ×7, first 2 shown]
	v_add_f64 v[84:85], v[84:85], v[88:89]
	v_add_f64 v[64:65], v[70:71], v[64:65]
	;; [unrolled: 1-line block ×4, first 2 shown]
	ds_write2_b64 v174, v[76:77], v[92:93] offset1:1
	v_add_f64 v[22:23], v[34:35], v[22:23]
	v_fma_f64 v[18:19], v[0:1], s[14:15], v[96:97]
	v_fma_f64 v[0:1], v[0:1], s[6:7], v[20:21]
	;; [unrolled: 1-line block ×10, first 2 shown]
	v_add_f64 v[38:39], v[38:39], v[42:43]
	v_fma_f64 v[86:87], v[32:33], s[14:15], v[164:165]
	v_fma_f64 v[32:33], v[32:33], s[6:7], v[94:95]
	v_add_f64 v[62:63], v[62:63], v[66:67]
	v_fma_f64 v[66:67], v[28:29], s[14:15], v[162:163]
	v_fma_f64 v[28:29], v[28:29], s[6:7], v[78:79]
	;; [unrolled: 1-line block ×5, first 2 shown]
	v_add_nc_u32_e32 v132, 0x7d, v136
	v_add_f64 v[30:31], v[30:31], v[68:69]
	v_add_f64 v[26:27], v[26:27], v[90:91]
	v_fma_f64 v[18:19], v[10:11], s[4:5], v[18:19]
	v_fma_f64 v[0:1], v[10:11], s[4:5], v[0:1]
	;; [unrolled: 1-line block ×8, first 2 shown]
	v_and_b32_e32 v96, 0xff, v136
	v_and_b32_e32 v95, 0xff, v132
	v_fma_f64 v[36:37], v[84:85], s[4:5], v[88:89]
	v_fma_f64 v[46:47], v[64:65], s[4:5], v[70:71]
	;; [unrolled: 1-line block ×9, first 2 shown]
	v_mov_b32_e32 v94, 6
	v_add_nc_u32_e32 v133, 0xfa, v136
	v_add_nc_u32_e32 v134, 0x177, v136
	;; [unrolled: 1-line block ×3, first 2 shown]
	ds_write2_b64 v149, v[2:3], v[20:21] offset1:1
	v_mul_lo_u16 v2, 0xcd, v96
	ds_write2_b64 v149, v[18:19], v[0:1] offset0:2 offset1:3
	ds_write_b64 v149, v[8:9] offset:32
	ds_write_b64 v149, v[10:11] offset:5032
	v_mul_lo_u16 v0, 0xcd, v95
	v_fma_f64 v[42:43], v[44:45], s[4:5], v[42:43]
	v_fma_f64 v[16:17], v[38:39], s[4:5], v[16:17]
	;; [unrolled: 1-line block ×3, first 2 shown]
	v_lshrrev_b16 v83, 10, v2
	v_lshrrev_b16 v97, 10, v0
	v_mov_b32_e32 v2, 0xcccd
	ds_write2_b64 v175, v[22:23], v[36:37] offset1:1
	ds_write2_b64 v176, v[34:35], v[32:33] offset1:1
	ds_write_b64 v149, v[40:41] offset:10032
	v_mul_lo_u16 v1, v83, 5
	v_mul_lo_u16 v0, v97, 5
	ds_write2_b64 v177, v[30:31], v[46:47] offset1:1
	ds_write2_b64 v178, v[66:67], v[28:29] offset1:1
	ds_write_b64 v149, v[60:61] offset:15032
	ds_write2_b64 v179, v[26:27], v[42:43] offset1:1
	ds_write2_b64 v180, v[62:63], v[16:17] offset1:1
	ds_write_b64 v149, v[24:25] offset:20032
	v_sub_nc_u16 v82, v136, v1
	v_sub_nc_u16 v98, v132, v0
	s_waitcnt lgkmcnt(0)
	s_barrier
	buffer_gl0_inv
	v_lshlrev_b32_sdwa v0, v94, v82 dst_sel:DWORD dst_unused:UNUSED_PAD src0_sel:DWORD src1_sel:BYTE_0
	v_lshlrev_b32_sdwa v1, v94, v98 dst_sel:DWORD dst_unused:UNUSED_PAD src0_sel:DWORD src1_sel:BYTE_0
	s_clause 0x1
	global_load_dwordx4 v[16:19], v0, s[12:13] offset:16
	global_load_dwordx4 v[36:39], v1, s[12:13] offset:16
	v_mul_u32_u24_sdwa v3, v133, v2 dst_sel:DWORD dst_unused:UNUSED_PAD src0_sel:WORD_0 src1_sel:DWORD
	s_clause 0x2
	global_load_dwordx4 v[44:47], v0, s[12:13] offset:48
	global_load_dwordx4 v[64:67], v1, s[12:13]
	global_load_dwordx4 v[60:63], v1, s[12:13] offset:48
	v_mul_lo_u16 v96, v96, 41
	v_lshrrev_b32_e32 v89, 18, v3
	v_mul_lo_u16 v3, v89, 5
	v_sub_nc_u16 v88, v133, v3
	v_lshlrev_b32_sdwa v3, v94, v88 dst_sel:DWORD dst_unused:UNUSED_PAD src0_sel:DWORD src1_sel:WORD_0
	s_clause 0x4
	global_load_dwordx4 v[84:87], v3, s[12:13]
	global_load_dwordx4 v[152:155], v0, s[12:13] offset:32
	global_load_dwordx4 v[90:93], v1, s[12:13] offset:32
	global_load_dwordx4 v[156:159], v0, s[12:13]
	global_load_dwordx4 v[164:167], v3, s[12:13] offset:16
	v_mul_u32_u24_sdwa v0, v134, v2 dst_sel:DWORD dst_unused:UNUSED_PAD src0_sel:WORD_0 src1_sel:DWORD
	s_clause 0x1
	global_load_dwordx4 v[160:163], v3, s[12:13] offset:32
	global_load_dwordx4 v[172:175], v3, s[12:13] offset:48
	v_mul_u32_u24_sdwa v1, v135, v2 dst_sel:DWORD dst_unused:UNUSED_PAD src0_sel:WORD_0 src1_sel:DWORD
	v_lshrrev_b32_e32 v99, 18, v0
	v_lshrrev_b32_e32 v150, 18, v1
	v_mul_lo_u16 v0, v99, 5
	v_mul_lo_u16 v1, v150, 5
	v_sub_nc_u16 v149, v134, v0
	v_sub_nc_u16 v151, v135, v1
	v_lshlrev_b32_sdwa v0, v94, v149 dst_sel:DWORD dst_unused:UNUSED_PAD src0_sel:DWORD src1_sel:WORD_0
	v_lshlrev_b32_sdwa v1, v94, v151 dst_sel:DWORD dst_unused:UNUSED_PAD src0_sel:DWORD src1_sel:WORD_0
	s_clause 0x7
	global_load_dwordx4 v[168:171], v0, s[12:13] offset:16
	global_load_dwordx4 v[176:179], v0, s[12:13] offset:48
	global_load_dwordx4 v[32:35], v0, s[12:13]
	global_load_dwordx4 v[28:31], v1, s[12:13]
	global_load_dwordx4 v[24:27], v1, s[12:13] offset:16
	global_load_dwordx4 v[20:23], v0, s[12:13] offset:32
	;; [unrolled: 1-line block ×4, first 2 shown]
	ds_read2_b64 v[78:81], v138 offset0:98 offset1:223
	ds_read2_b64 v[180:183], v139 offset0:68 offset1:193
	;; [unrolled: 1-line block ×4, first 2 shown]
	s_waitcnt vmcnt(19) lgkmcnt(3)
	v_mul_f64 v[40:41], v[78:79], v[18:19]
	v_mul_f64 v[18:19], v[124:125], v[18:19]
	s_waitcnt vmcnt(18)
	v_mul_f64 v[42:43], v[80:81], v[38:39]
	v_mul_f64 v[38:39], v[126:127], v[38:39]
	s_waitcnt vmcnt(17) lgkmcnt(2)
	v_mul_f64 v[68:69], v[180:181], v[46:47]
	v_mul_f64 v[46:47], v[120:121], v[46:47]
	s_waitcnt vmcnt(15)
	v_mul_f64 v[74:75], v[182:183], v[62:63]
	v_mul_f64 v[192:193], v[116:117], v[66:67]
	v_fma_f64 v[76:77], v[124:125], v[16:17], v[40:41]
	v_fma_f64 v[70:71], v[78:79], v[16:17], -v[18:19]
	v_mul_f64 v[78:79], v[122:123], v[62:63]
	v_fma_f64 v[42:43], v[126:127], v[36:37], v[42:43]
	ds_read2_b64 v[124:127], v140 offset0:80 offset1:205
	v_fma_f64 v[40:41], v[80:81], v[36:37], -v[38:39]
	ds_read2_b64 v[16:19], v141 offset0:116 offset1:241
	s_waitcnt lgkmcnt(3)
	v_mul_f64 v[36:37], v[184:185], v[66:67]
	v_fma_f64 v[80:81], v[120:121], v[44:45], v[68:69]
	v_fma_f64 v[62:63], v[180:181], v[44:45], -v[46:47]
	s_waitcnt vmcnt(14)
	v_mul_f64 v[44:45], v[186:187], v[86:87]
	v_mul_f64 v[68:69], v[118:119], v[86:87]
	v_fma_f64 v[46:47], v[122:123], v[60:61], v[74:75]
	s_waitcnt vmcnt(13) lgkmcnt(2)
	v_mul_f64 v[74:75], v[190:191], v[154:155]
	ds_read2_b64 v[120:123], v144 offset0:92 offset1:217
	s_waitcnt vmcnt(12) lgkmcnt(2)
	v_mul_f64 v[86:87], v[124:125], v[92:93]
	v_fma_f64 v[38:39], v[182:183], v[60:61], -v[78:79]
	v_mul_f64 v[92:93], v[112:113], v[92:93]
	s_waitcnt vmcnt(11) lgkmcnt(1)
	v_mul_f64 v[180:181], v[18:19], v[158:159]
	s_waitcnt vmcnt(9)
	v_mul_f64 v[182:183], v[126:127], v[162:163]
	v_mul_f64 v[162:163], v[114:115], v[162:163]
	v_fma_f64 v[66:67], v[116:117], v[64:65], v[36:37]
	v_fma_f64 v[60:61], v[184:185], v[64:65], -v[192:193]
	v_fma_f64 v[64:65], v[118:119], v[84:85], v[44:45]
	ds_read2_b64 v[116:119], v145 offset0:62 offset1:187
	v_fma_f64 v[36:37], v[186:187], v[84:85], -v[68:69]
	v_mul_f64 v[84:85], v[6:7], v[158:159]
	v_fma_f64 v[78:79], v[54:55], v[152:153], v[74:75]
	v_mul_f64 v[158:159], v[108:109], v[166:167]
	v_mov_b32_e32 v184, 0xc8
	v_mul_u32_u24_sdwa v185, v83, v184 dst_sel:DWORD dst_unused:UNUSED_PAD src0_sel:WORD_0 src1_sel:DWORD
	v_mul_u32_u24_sdwa v97, v97, v184 dst_sel:DWORD dst_unused:UNUSED_PAD src0_sel:WORD_0 src1_sel:DWORD
	v_fma_f64 v[74:75], v[112:113], v[90:91], v[86:87]
	s_waitcnt lgkmcnt(1)
	v_mul_f64 v[86:87], v[120:121], v[166:167]
	v_fma_f64 v[68:69], v[124:125], v[90:91], -v[92:93]
	v_mul_f64 v[92:93], v[54:55], v[154:155]
	v_fma_f64 v[54:55], v[6:7], v[156:157], v[180:181]
	v_fma_f64 v[44:45], v[114:115], v[160:161], v[182:183]
	s_waitcnt vmcnt(7)
	v_mul_f64 v[113:114], v[122:123], v[170:171]
	v_fma_f64 v[6:7], v[126:127], v[160:161], -v[162:163]
	s_waitcnt lgkmcnt(0)
	v_mul_f64 v[160:161], v[116:117], v[174:175]
	v_mul_f64 v[162:163], v[104:105], v[174:175]
	ds_read2_b64 v[180:183], v146 offset0:104 offset1:229
	v_mov_b32_e32 v112, 3
	v_mul_f64 v[154:155], v[110:111], v[170:171]
	v_fma_f64 v[156:157], v[18:19], v[156:157], -v[84:85]
	v_add_f64 v[84:85], v[76:77], v[78:79]
	s_waitcnt vmcnt(6)
	v_mul_f64 v[166:167], v[118:119], v[178:179]
	v_mul_f64 v[170:171], v[106:107], v[178:179]
	v_fma_f64 v[18:19], v[120:121], v[164:165], -v[158:159]
	v_lshlrev_b32_sdwa v186, v112, v82 dst_sel:DWORD dst_unused:UNUSED_PAD src0_sel:DWORD src1_sel:BYTE_0
	ds_read2_b64 v[124:127], v148 offset0:74 offset1:199
	v_add_f64 v[174:175], v[42:43], -v[66:67]
	v_lshlrev_b32_sdwa v98, v112, v98 dst_sel:DWORD dst_unused:UNUSED_PAD src0_sel:DWORD src1_sel:BYTE_0
	v_fma_f64 v[90:91], v[108:109], v[164:165], v[86:87]
	s_waitcnt vmcnt(3)
	v_mul_f64 v[164:165], v[52:53], v[26:27]
	v_fma_f64 v[108:109], v[190:191], v[152:153], -v[92:93]
	v_add_f64 v[120:121], v[54:55], v[80:81]
	v_add3_u32 v97, 0, v97, v98
	v_fma_f64 v[86:87], v[110:111], v[168:169], v[113:114]
	v_mul_f64 v[110:111], v[100:101], v[34:35]
	s_waitcnt lgkmcnt(1)
	v_mul_f64 v[152:153], v[180:181], v[34:35]
	v_mul_f64 v[113:114], v[182:183], v[30:31]
	v_fma_f64 v[92:93], v[104:105], v[172:173], v[160:161]
	v_add_f64 v[104:105], v[42:43], v[74:75]
	v_fma_f64 v[82:83], v[116:117], v[172:173], -v[162:163]
	v_add_f64 v[115:116], v[66:67], v[46:47]
	v_fma_f64 v[34:35], v[122:123], v[168:169], -v[154:155]
	v_add_f64 v[154:155], v[56:57], v[54:55]
	v_add_f64 v[158:159], v[156:157], -v[62:63]
	v_fma_f64 v[160:161], v[84:85], -0.5, v[56:57]
	v_mul_f64 v[162:163], v[102:103], v[30:31]
	v_fma_f64 v[30:31], v[106:107], v[176:177], v[166:167]
	v_mul_f64 v[106:107], v[188:189], v[26:27]
	v_fma_f64 v[84:85], v[118:119], v[176:177], -v[170:171]
	s_waitcnt vmcnt(2) lgkmcnt(0)
	v_mul_f64 v[117:118], v[124:125], v[22:23]
	v_mul_f64 v[168:169], v[48:49], v[22:23]
	ds_read_b64 v[122:123], v137 offset:24000
	v_add_f64 v[166:167], v[70:71], -v[108:109]
	v_fma_f64 v[119:120], v[120:121], -0.5, v[56:57]
	s_waitcnt vmcnt(1)
	v_mul_f64 v[170:171], v[126:127], v[10:11]
	v_mul_f64 v[10:11], v[50:51], v[10:11]
	v_fma_f64 v[22:23], v[180:181], v[32:33], -v[110:111]
	v_fma_f64 v[56:57], v[100:101], v[32:33], v[152:153]
	v_fma_f64 v[26:27], v[102:103], v[28:29], v[113:114]
	v_add_f64 v[100:101], v[54:55], -v[76:77]
	v_add_f64 v[102:103], v[80:81], -v[78:79]
	;; [unrolled: 1-line block ×3, first 2 shown]
	v_fma_f64 v[104:105], v[104:105], -0.5, v[58:59]
	v_add_f64 v[152:153], v[40:41], -v[68:69]
	v_fma_f64 v[115:116], v[115:116], -0.5, v[58:59]
	v_add_f64 v[110:111], v[58:59], v[66:67]
	v_add_f64 v[154:155], v[154:155], v[76:77]
	v_fma_f64 v[172:173], v[158:159], s[2:3], v[160:161]
	v_fma_f64 v[28:29], v[182:183], v[28:29], -v[162:163]
	v_fma_f64 v[32:33], v[52:53], v[24:25], v[106:107]
	v_fma_f64 v[24:25], v[188:189], v[24:25], -v[164:165]
	s_waitcnt vmcnt(0) lgkmcnt(0)
	v_mul_f64 v[162:163], v[122:123], v[2:3]
	v_add_f64 v[52:53], v[76:77], -v[54:55]
	v_add_f64 v[106:107], v[78:79], -v[80:81]
	v_fma_f64 v[58:59], v[48:49], v[20:21], v[117:118]
	v_fma_f64 v[164:165], v[166:167], s[8:9], v[119:120]
	;; [unrolled: 1-line block ×3, first 2 shown]
	v_add_f64 v[48:49], v[66:67], -v[42:43]
	v_fma_f64 v[117:118], v[158:159], s[8:9], v[160:161]
	v_add_f64 v[160:161], v[46:47], -v[74:75]
	v_add_f64 v[176:177], v[74:75], -v[46:47]
	v_fma_f64 v[20:21], v[124:125], v[20:21], -v[168:169]
	v_add_f64 v[180:181], v[100:101], v[102:103]
	v_add_f64 v[124:125], v[90:91], v[44:45]
	v_fma_f64 v[178:179], v[113:114], s[2:3], v[104:105]
	v_fma_f64 v[103:104], v[113:114], s[8:9], v[104:105]
	;; [unrolled: 1-line block ×3, first 2 shown]
	v_add_f64 v[110:111], v[110:111], v[42:43]
	v_fma_f64 v[115:116], v[152:153], s[2:3], v[115:116]
	v_add_f64 v[154:155], v[154:155], v[78:79]
	v_fma_f64 v[172:173], v[166:167], s[6:7], v[172:173]
	v_mul_f64 v[2:3], v[72:73], v[2:3]
	v_fma_f64 v[168:169], v[50:51], v[8:9], v[170:171]
	v_add3_u32 v100, 0, v185, v186
	v_add_f64 v[170:171], v[90:91], -v[64:65]
	v_add_f64 v[50:51], v[52:53], v[106:107]
	v_fma_f64 v[52:53], v[126:127], v[8:9], -v[10:11]
	v_fma_f64 v[105:106], v[158:159], s[6:7], v[164:165]
	v_fma_f64 v[119:120], v[158:159], s[14:15], v[119:120]
	v_add_f64 v[8:9], v[64:65], v[92:93]
	v_fma_f64 v[10:11], v[166:167], s[14:15], v[117:118]
	v_add_f64 v[117:118], v[12:13], v[64:65]
	;; [unrolled: 2-line block ×3, first 2 shown]
	v_add_f64 v[160:161], v[174:175], v[176:177]
	v_add_f64 v[164:165], v[36:37], -v[82:83]
	v_fma_f64 v[158:159], v[152:153], s[6:7], v[178:179]
	v_fma_f64 v[152:153], v[152:153], s[14:15], v[103:104]
	v_fma_f64 v[162:163], v[113:114], s[6:7], v[101:102]
	v_fma_f64 v[124:125], v[124:125], -0.5, v[12:13]
	v_add_f64 v[110:111], v[110:111], v[74:75]
	v_fma_f64 v[113:114], v[113:114], s[14:15], v[115:116]
	v_add_f64 v[115:116], v[154:155], v[80:81]
	v_fma_f64 v[154:155], v[180:181], s[4:5], v[172:173]
	v_fma_f64 v[72:73], v[122:123], v[0:1], -v[2:3]
	v_add_f64 v[121:122], v[86:87], v[58:59]
	v_add_f64 v[174:175], v[32:33], v[168:169]
	ds_read2_b64 v[0:3], v137 offset1:125
	ds_read2_b64 v[101:104], v143 offset0:122 offset1:247
	s_waitcnt lgkmcnt(0)
	v_fma_f64 v[105:106], v[50:51], s[4:5], v[105:106]
	v_fma_f64 v[50:51], v[50:51], s[4:5], v[119:120]
	v_add_f64 v[119:120], v[18:19], -v[6:7]
	v_fma_f64 v[8:9], v[8:9], -0.5, v[12:13]
	v_add_f64 v[12:13], v[117:118], v[90:91]
	v_fma_f64 v[10:11], v[180:181], s[4:5], v[10:11]
	v_add_f64 v[176:177], v[26:27], v[126:127]
	v_add_f64 v[166:167], v[92:93], -v[44:45]
	v_add_f64 v[172:173], v[44:45], -v[92:93]
	v_fma_f64 v[117:118], v[48:49], s[4:5], v[158:159]
	v_fma_f64 v[48:49], v[48:49], s[4:5], v[152:153]
	;; [unrolled: 1-line block ×3, first 2 shown]
	v_add_f64 v[162:163], v[56:57], v[30:31]
	v_fma_f64 v[152:153], v[164:165], s[2:3], v[124:125]
	v_add_f64 v[110:111], v[110:111], v[46:47]
	v_fma_f64 v[113:114], v[160:161], s[4:5], v[113:114]
	v_add_f64 v[160:161], v[64:65], -v[90:91]
	s_barrier
	buffer_gl0_inv
	ds_write2_b64 v100, v[115:116], v[154:155] offset1:5
	ds_write2_b64 v100, v[105:106], v[50:51] offset0:10 offset1:15
	ds_write_b64 v100, v[10:11] offset:160
	ds_write2_b64 v97, v[110:111], v[117:118] offset1:5
	v_fma_f64 v[178:179], v[119:120], s[8:9], v[8:9]
	v_fma_f64 v[8:9], v[119:120], s[2:3], v[8:9]
	v_fma_f64 v[10:11], v[121:122], -0.5, v[14:15]
	v_add_f64 v[50:51], v[14:15], v[56:57]
	v_add_f64 v[105:106], v[22:23], -v[84:85]
	v_fma_f64 v[14:15], v[162:163], -0.5, v[14:15]
	v_add_f64 v[110:111], v[34:35], -v[20:21]
	ds_write_b64 v97, v[48:49] offset:160
	v_fma_f64 v[48:49], v[119:120], s[6:7], v[152:153]
	v_fma_f64 v[117:118], v[174:175], -0.5, v[4:5]
	v_add_f64 v[152:153], v[28:29], -v[72:73]
	v_fma_f64 v[121:122], v[176:177], -0.5, v[4:5]
	v_add_f64 v[4:5], v[4:5], v[26:27]
	ds_write2_b64 v97, v[158:159], v[113:114] offset0:10 offset1:15
	v_add_f64 v[113:114], v[160:161], v[166:167]
	v_add_f64 v[115:116], v[170:171], v[172:173]
	v_add_f64 v[154:155], v[24:25], -v[52:53]
	v_fma_f64 v[123:124], v[164:165], s[8:9], v[124:125]
	v_add_f64 v[160:161], v[56:57], -v[86:87]
	v_add_f64 v[162:163], v[70:71], v[108:109]
	v_add_f64 v[170:171], v[86:87], -v[56:57]
	v_add_f64 v[172:173], v[58:59], -v[30:31]
	v_fma_f64 v[158:159], v[164:165], s[6:7], v[178:179]
	v_fma_f64 v[8:9], v[164:165], s[14:15], v[8:9]
	v_add_f64 v[164:165], v[30:31], -v[58:59]
	v_add_f64 v[176:177], v[26:27], -v[32:33]
	v_fma_f64 v[166:167], v[105:106], s[2:3], v[10:11]
	v_add_f64 v[178:179], v[126:127], -v[168:169]
	v_fma_f64 v[174:175], v[110:111], s[8:9], v[14:15]
	v_fma_f64 v[14:15], v[110:111], s[2:3], v[14:15]
	v_add_f64 v[50:51], v[50:51], v[86:87]
	v_fma_f64 v[10:11], v[105:106], s[8:9], v[10:11]
	v_fma_f64 v[184:185], v[152:153], s[2:3], v[117:118]
	;; [unrolled: 1-line block ×3, first 2 shown]
	v_add_f64 v[4:5], v[4:5], v[32:33]
	v_add_f64 v[12:13], v[12:13], v[44:45]
	v_mul_u32_u24_e32 v98, 0xc8, v89
	v_add_f64 v[180:181], v[32:33], -v[26:27]
	v_add_f64 v[182:183], v[168:169], -v[126:127]
	v_fma_f64 v[186:187], v[154:155], s[8:9], v[121:122]
	v_fma_f64 v[121:122], v[154:155], s[2:3], v[121:122]
	v_lshlrev_b32_sdwa v107, v112, v88 dst_sel:DWORD dst_unused:UNUSED_PAD src0_sel:DWORD src1_sel:WORD_0
	v_add_f64 v[54:55], v[54:55], -v[80:81]
	v_add_f64 v[80:81], v[0:1], v[156:157]
	v_fma_f64 v[88:89], v[162:163], -0.5, v[0:1]
	v_fma_f64 v[119:120], v[119:120], s[14:15], v[123:124]
	v_add_f64 v[160:161], v[160:161], v[164:165]
	v_add_f64 v[164:165], v[170:171], v[172:173]
	v_fma_f64 v[162:163], v[110:111], s[6:7], v[166:167]
	v_fma_f64 v[48:49], v[113:114], s[4:5], v[48:49]
	;; [unrolled: 1-line block ×4, first 2 shown]
	v_add_f64 v[105:106], v[176:177], v[178:179]
	v_add_f64 v[50:51], v[50:51], v[58:59]
	v_fma_f64 v[170:171], v[154:155], s[6:7], v[184:185]
	v_fma_f64 v[117:118], v[154:155], s[14:15], v[117:118]
	;; [unrolled: 1-line block ×3, first 2 shown]
	v_add_f64 v[4:5], v[4:5], v[168:169]
	v_add_f64 v[12:13], v[12:13], v[92:93]
	;; [unrolled: 1-line block ×4, first 2 shown]
	v_fma_f64 v[172:173], v[152:153], s[6:7], v[186:187]
	v_fma_f64 v[121:122], v[152:153], s[14:15], v[121:122]
	v_add_f64 v[76:77], v[76:77], -v[78:79]
	v_add_f64 v[78:79], v[156:157], -v[70:71]
	;; [unrolled: 1-line block ×3, first 2 shown]
	v_add_f64 v[80:81], v[80:81], v[70:71]
	v_fma_f64 v[154:155], v[54:55], s[8:9], v[88:89]
	v_fma_f64 v[113:114], v[113:114], s[4:5], v[119:120]
	;; [unrolled: 1-line block ×5, first 2 shown]
	v_add3_u32 v188, 0, v98, v107
	v_mul_u32_u24_e32 v125, 0xc8, v99
	v_fma_f64 v[98:99], v[164:165], s[4:5], v[166:167]
	v_add_f64 v[50:51], v[50:51], v[30:31]
	v_fma_f64 v[119:120], v[105:106], s[4:5], v[170:171]
	v_fma_f64 v[105:106], v[105:106], s[4:5], v[117:118]
	v_add_f64 v[117:118], v[2:3], v[60:61]
	v_fma_f64 v[14:15], v[164:165], s[4:5], v[14:15]
	v_fma_f64 v[10:11], v[160:161], s[4:5], v[10:11]
	v_add_f64 v[4:5], v[4:5], v[126:127]
	v_lshlrev_b32_sdwa v162, v112, v149 dst_sel:DWORD dst_unused:UNUSED_PAD src0_sel:DWORD src1_sel:WORD_0
	v_mul_u32_u24_e32 v160, 0xc8, v150
	v_lshlrev_b32_sdwa v161, v112, v151 dst_sel:DWORD dst_unused:UNUSED_PAD src0_sel:DWORD src1_sel:WORD_0
	v_fma_f64 v[0:1], v[123:124], -0.5, v[0:1]
	v_fma_f64 v[123:124], v[110:111], s[4:5], v[172:173]
	v_fma_f64 v[110:111], v[110:111], s[4:5], v[121:122]
	v_add_f64 v[78:79], v[78:79], v[152:153]
	v_add_f64 v[80:81], v[80:81], v[108:109]
	v_fma_f64 v[121:122], v[76:77], s[14:15], v[154:155]
	v_add_f64 v[70:71], v[70:71], -v[156:157]
	v_add_f64 v[107:108], v[108:109], -v[62:63]
	v_fma_f64 v[88:89], v[54:55], s[2:3], v[88:89]
	v_add_f64 v[151:152], v[40:41], v[68:69]
	v_add_f64 v[153:154], v[60:61], v[38:39]
	ds_write2_b64 v188, v[12:13], v[48:49] offset1:5
	ds_write2_b64 v188, v[158:159], v[8:9] offset0:10 offset1:15
	v_add3_u32 v163, 0, v125, v162
	v_add3_u32 v164, 0, v160, v161
	ds_write_b64 v188, v[113:114] offset:160
	ds_write2_b64 v163, v[50:51], v[115:116] offset1:5
	ds_write2_b64 v163, v[98:99], v[14:15] offset0:10 offset1:15
	ds_write_b64 v163, v[10:11] offset:160
	ds_write2_b64 v164, v[4:5], v[119:120] offset1:5
	v_add_f64 v[8:9], v[117:118], v[40:41]
	v_add_f64 v[4:5], v[18:19], v[6:7]
	v_add_f64 v[66:67], v[66:67], -v[46:47]
	v_add_f64 v[74:75], v[42:43], -v[74:75]
	;; [unrolled: 1-line block ×3, first 2 shown]
	v_fma_f64 v[149:150], v[76:77], s[2:3], v[0:1]
	v_fma_f64 v[0:1], v[76:77], s[8:9], v[0:1]
	ds_write_b64 v164, v[105:106] offset:160
	v_add_f64 v[46:47], v[60:61], -v[40:41]
	v_add_f64 v[105:106], v[38:39], -v[68:69]
	;; [unrolled: 1-line block ×3, first 2 shown]
	ds_write2_b64 v164, v[123:124], v[110:111] offset0:10 offset1:15
	v_add_f64 v[48:49], v[70:71], v[107:108]
	v_fma_f64 v[70:71], v[76:77], s[6:7], v[88:89]
	v_fma_f64 v[76:77], v[151:152], -0.5, v[2:3]
	v_fma_f64 v[98:99], v[153:154], -0.5, v[2:3]
	v_add_f64 v[107:108], v[36:37], v[82:83]
	v_add_f64 v[109:110], v[34:35], v[20:21]
	;; [unrolled: 1-line block ×4, first 2 shown]
	v_fma_f64 v[80:81], v[78:79], s[4:5], v[121:122]
	v_add_f64 v[123:124], v[101:102], v[36:37]
	v_add_f64 v[92:93], v[8:9], v[68:69]
	v_fma_f64 v[4:5], v[4:5], -0.5, v[101:102]
	v_add_f64 v[68:69], v[68:69], -v[38:39]
	v_add_f64 v[151:152], v[28:29], v[72:73]
	v_add_f64 v[119:120], v[36:37], -v[18:19]
	v_fma_f64 v[50:51], v[54:55], s[14:15], v[149:150]
	v_add_f64 v[121:122], v[82:83], -v[6:7]
	v_add_f64 v[90:91], v[90:91], -v[44:45]
	;; [unrolled: 1-line block ×4, first 2 shown]
	v_fma_f64 v[54:55], v[54:55], s[6:7], v[0:1]
	v_add_f64 v[105:106], v[46:47], v[105:106]
	s_waitcnt lgkmcnt(0)
	v_fma_f64 v[70:71], v[78:79], s[4:5], v[70:71]
	v_fma_f64 v[78:79], v[66:67], s[8:9], v[76:77]
	;; [unrolled: 1-line block ×5, first 2 shown]
	s_barrier
	buffer_gl0_inv
	ds_read_b64 v[88:89], v137 offset:24000
	ds_read2_b64 v[12:15], v137 offset1:125
	v_add_f64 v[86:87], v[123:124], v[18:19]
	v_add_f64 v[92:93], v[92:93], v[38:39]
	;; [unrolled: 1-line block ×3, first 2 shown]
	v_fma_f64 v[149:150], v[64:65], s[8:9], v[4:5]
	v_add_f64 v[60:61], v[60:61], v[68:69]
	v_fma_f64 v[4:5], v[64:65], s[2:3], v[4:5]
	v_fma_f64 v[68:69], v[107:108], -0.5, v[101:102]
	v_fma_f64 v[101:102], v[109:110], -0.5, v[103:104]
	;; [unrolled: 1-line block ×3, first 2 shown]
	v_add_f64 v[103:104], v[103:104], v[22:23]
	v_add_f64 v[18:19], v[18:19], -v[36:37]
	v_fma_f64 v[36:37], v[151:152], -0.5, v[16:17]
	v_add_f64 v[113:114], v[32:33], -v[168:169]
	v_add_f64 v[151:152], v[52:53], -v[72:73]
	v_fma_f64 v[115:116], v[48:49], s[4:5], v[50:51]
	v_fma_f64 v[56:57], v[74:75], s[14:15], v[78:79]
	;; [unrolled: 1-line block ×4, first 2 shown]
	v_add_f64 v[98:99], v[16:17], v[28:29]
	v_add_f64 v[117:118], v[26:27], -v[126:127]
	v_fma_f64 v[74:75], v[74:75], s[6:7], v[76:77]
	v_add_f64 v[76:77], v[119:120], v[121:122]
	v_add_f64 v[125:126], v[28:29], -v[24:25]
	v_add_f64 v[86:87], v[86:87], v[6:7]
	v_fma_f64 v[16:17], v[38:39], -0.5, v[16:17]
	v_fma_f64 v[109:110], v[90:91], s[14:15], v[149:150]
	v_add_f64 v[149:150], v[72:73], -v[52:53]
	v_fma_f64 v[119:120], v[90:91], s[6:7], v[4:5]
	v_add_f64 v[4:5], v[6:7], -v[82:83]
	v_fma_f64 v[26:27], v[90:91], s[2:3], v[68:69]
	v_fma_f64 v[32:33], v[90:91], s[8:9], v[68:69]
	v_add_f64 v[68:69], v[22:23], -v[34:35]
	v_add_f64 v[90:91], v[84:85], -v[20:21]
	v_fma_f64 v[121:122], v[30:31], s[8:9], v[101:102]
	v_add_f64 v[103:104], v[103:104], v[34:35]
	v_fma_f64 v[101:102], v[30:31], s[2:3], v[101:102]
	v_add_f64 v[22:23], v[34:35], -v[22:23]
	v_add_f64 v[34:35], v[20:21], -v[84:85]
	v_fma_f64 v[123:124], v[58:59], s[2:3], v[107:108]
	v_fma_f64 v[107:108], v[58:59], s[8:9], v[107:108]
	v_add_f64 v[98:99], v[98:99], v[24:25]
	v_add_f64 v[24:25], v[24:25], -v[28:29]
	v_fma_f64 v[153:154], v[113:114], s[2:3], v[36:37]
	v_fma_f64 v[155:156], v[113:114], s[8:9], v[36:37]
	v_fma_f64 v[54:55], v[48:49], s[4:5], v[54:55]
	v_fma_f64 v[56:57], v[105:106], s[4:5], v[56:57]
	v_fma_f64 v[157:158], v[117:118], s[8:9], v[16:17]
	v_fma_f64 v[16:17], v[117:118], s[2:3], v[16:17]
	v_fma_f64 v[78:79], v[60:61], s[4:5], v[78:79]
	v_fma_f64 v[60:61], v[60:61], s[4:5], v[66:67]
	v_add_f64 v[159:160], v[18:19], v[4:5]
	v_fma_f64 v[161:162], v[64:65], s[14:15], v[26:27]
	v_fma_f64 v[64:65], v[64:65], s[6:7], v[32:33]
	;; [unrolled: 1-line block ×3, first 2 shown]
	v_add_f64 v[68:69], v[68:69], v[90:91]
	v_fma_f64 v[90:91], v[58:59], s[14:15], v[121:122]
	v_add_f64 v[20:21], v[103:104], v[20:21]
	v_fma_f64 v[58:59], v[58:59], s[6:7], v[101:102]
	v_add_f64 v[74:75], v[86:87], v[82:83]
	v_add_f64 v[22:23], v[22:23], v[34:35]
	v_fma_f64 v[101:102], v[30:31], s[14:15], v[123:124]
	v_fma_f64 v[103:104], v[30:31], s[6:7], v[107:108]
	v_add_f64 v[107:108], v[125:126], v[149:150]
	v_add_f64 v[52:53], v[98:99], v[52:53]
	;; [unrolled: 1-line block ×3, first 2 shown]
	v_fma_f64 v[121:122], v[117:118], s[14:15], v[153:154]
	v_fma_f64 v[117:118], v[117:118], s[6:7], v[155:156]
	v_fma_f64 v[82:83], v[76:77], s[4:5], v[109:110]
	v_fma_f64 v[123:124], v[113:114], s[14:15], v[157:158]
	v_fma_f64 v[113:114], v[113:114], s[6:7], v[16:17]
	v_fma_f64 v[76:77], v[76:77], s[4:5], v[119:120]
	ds_read2_b64 v[0:3], v141 offset0:116 offset1:241
	ds_read2_b64 v[40:43], v138 offset0:98 offset1:223
	;; [unrolled: 1-line block ×3, first 2 shown]
	v_fma_f64 v[86:87], v[159:160], s[4:5], v[161:162]
	v_fma_f64 v[64:65], v[159:160], s[4:5], v[64:65]
	ds_read2_b64 v[48:51], v139 offset0:68 offset1:193
	ds_read2_b64 v[44:47], v142 offset0:110 offset1:235
	;; [unrolled: 1-line block ×3, first 2 shown]
	v_add_f64 v[20:21], v[20:21], v[84:85]
	v_fma_f64 v[84:85], v[68:69], s[4:5], v[90:91]
	ds_read2_b64 v[4:7], v143 offset0:122 offset1:247
	ds_read2_b64 v[32:35], v144 offset0:92 offset1:217
	v_fma_f64 v[90:91], v[22:23], s[4:5], v[101:102]
	v_fma_f64 v[22:23], v[22:23], s[4:5], v[103:104]
	ds_read2_b64 v[28:31], v145 offset0:62 offset1:187
	ds_read2_b64 v[24:27], v146 offset0:104 offset1:229
	;; [unrolled: 1-line block ×3, first 2 shown]
	s_waitcnt lgkmcnt(0)
	s_barrier
	buffer_gl0_inv
	ds_write2_b64 v100, v[62:63], v[80:81] offset1:5
	ds_write2_b64 v100, v[115:116], v[54:55] offset0:10 offset1:15
	ds_write_b64 v100, v[70:71] offset:160
	ds_write2_b64 v97, v[92:93], v[56:57] offset1:5
	v_mul_lo_u16 v54, v95, 41
	v_add_f64 v[52:53], v[52:53], v[72:73]
	v_fma_f64 v[72:73], v[107:108], s[4:5], v[123:124]
	v_fma_f64 v[101:102], v[107:108], s[4:5], v[113:114]
	;; [unrolled: 1-line block ×3, first 2 shown]
	v_lshrrev_b16 v108, 10, v54
	v_fma_f64 v[68:69], v[98:99], s[4:5], v[121:122]
	v_fma_f64 v[98:99], v[98:99], s[4:5], v[117:118]
	ds_write2_b64 v97, v[78:79], v[60:61] offset0:10 offset1:15
	ds_write_b64 v97, v[66:67] offset:160
	ds_write2_b64 v188, v[74:75], v[82:83] offset1:5
	ds_write2_b64 v188, v[86:87], v[64:65] offset0:10 offset1:15
	ds_write_b64 v188, v[76:77] offset:160
	ds_write2_b64 v163, v[20:21], v[84:85] offset1:5
	ds_write2_b64 v163, v[90:91], v[22:23] offset0:10 offset1:15
	v_mul_lo_u16 v20, v108, 25
	v_lshrrev_b16 v110, 10, v96
	ds_write_b64 v163, v[58:59] offset:160
	ds_write2_b64 v164, v[52:53], v[72:73] offset1:5
	ds_write2_b64 v164, v[68:69], v[98:99] offset0:10 offset1:15
	v_sub_nc_u16 v109, v132, v20
	v_mov_b32_e32 v20, 0x47af
	v_mul_lo_u16 v55, v110, 25
	ds_write_b64 v164, v[101:102] offset:160
	s_waitcnt lgkmcnt(0)
	v_lshlrev_b32_sdwa v22, v94, v109 dst_sel:DWORD dst_unused:UNUSED_PAD src0_sel:DWORD src1_sel:BYTE_0
	v_mul_u32_u24_sdwa v23, v133, v20 dst_sel:DWORD dst_unused:UNUSED_PAD src0_sel:WORD_0 src1_sel:DWORD
	v_sub_nc_u16 v116, v136, v55
	s_barrier
	buffer_gl0_inv
	v_lshrrev_b32_e32 v23, 16, v23
	v_lshlrev_b32_sdwa v21, v94, v116 dst_sel:DWORD dst_unused:UNUSED_PAD src0_sel:DWORD src1_sel:BYTE_0
	s_clause 0x1
	global_load_dwordx4 v[90:93], v21, s[12:13] offset:336
	global_load_dwordx4 v[96:99], v22, s[12:13] offset:336
	v_sub_nc_u16 v52, v133, v23
	s_clause 0x3
	global_load_dwordx4 v[100:103], v21, s[12:13] offset:368
	global_load_dwordx4 v[121:124], v21, s[12:13] offset:320
	;; [unrolled: 1-line block ×4, first 2 shown]
	v_lshrrev_b16 v52, 1, v52
	v_add_nc_u16 v23, v52, v23
	v_lshrrev_b16 v106, 4, v23
	v_mul_lo_u16 v23, v106, 25
	v_sub_nc_u16 v107, v133, v23
	v_mul_u32_u24_sdwa v23, v134, v20 dst_sel:DWORD dst_unused:UNUSED_PAD src0_sel:WORD_0 src1_sel:DWORD
	v_mul_u32_u24_sdwa v20, v135, v20 dst_sel:DWORD dst_unused:UNUSED_PAD src0_sel:WORD_0 src1_sel:DWORD
	v_lshlrev_b32_sdwa v52, v94, v107 dst_sel:DWORD dst_unused:UNUSED_PAD src0_sel:DWORD src1_sel:WORD_0
	v_lshrrev_b32_e32 v23, 16, v23
	v_lshrrev_b32_e32 v20, 16, v20
	s_clause 0x2
	global_load_dwordx4 v[153:156], v52, s[12:13] offset:320
	global_load_dwordx4 v[157:160], v21, s[12:13] offset:352
	global_load_dwordx4 v[161:164], v22, s[12:13] offset:352
	v_sub_nc_u16 v53, v134, v23
	v_sub_nc_u16 v22, v135, v20
	s_clause 0x2
	global_load_dwordx4 v[165:168], v52, s[12:13] offset:352
	global_load_dwordx4 v[80:83], v52, s[12:13] offset:368
	;; [unrolled: 1-line block ×3, first 2 shown]
	v_lshrrev_b16 v21, 1, v53
	v_add_nc_u16 v21, v21, v23
	v_lshrrev_b16 v113, 4, v21
	v_mul_lo_u16 v21, v113, 25
	v_sub_nc_u16 v114, v134, v21
	v_lshrrev_b16 v21, 1, v22
	v_lshlrev_b32_sdwa v22, v94, v114 dst_sel:DWORD dst_unused:UNUSED_PAD src0_sel:DWORD src1_sel:WORD_0
	v_add_nc_u16 v20, v21, v20
	s_clause 0x2
	global_load_dwordx4 v[76:79], v22, s[12:13] offset:368
	global_load_dwordx4 v[84:87], v22, s[12:13] offset:336
	;; [unrolled: 1-line block ×3, first 2 shown]
	v_lshrrev_b16 v115, 4, v20
	v_mul_lo_u16 v20, v115, 25
	v_sub_nc_u16 v111, v135, v20
	v_lshlrev_b32_sdwa v20, v94, v111 dst_sel:DWORD dst_unused:UNUSED_PAD src0_sel:DWORD src1_sel:WORD_0
	s_clause 0x4
	global_load_dwordx4 v[68:71], v20, s[12:13] offset:320
	global_load_dwordx4 v[64:67], v20, s[12:13] offset:336
	global_load_dwordx4 v[60:63], v22, s[12:13] offset:352
	global_load_dwordx4 v[56:59], v20, s[12:13] offset:352
	global_load_dwordx4 v[52:55], v20, s[12:13] offset:368
	ds_read2_b64 v[173:176], v138 offset0:98 offset1:223
	ds_read2_b64 v[177:180], v139 offset0:68 offset1:193
	;; [unrolled: 1-line block ×5, first 2 shown]
	s_waitcnt vmcnt(19) lgkmcnt(4)
	v_mul_f64 v[94:95], v[173:174], v[92:93]
	v_mul_f64 v[92:93], v[40:41], v[92:93]
	s_waitcnt vmcnt(18)
	v_mul_f64 v[104:105], v[175:176], v[98:99]
	v_mul_f64 v[125:126], v[42:43], v[98:99]
	s_waitcnt vmcnt(17) lgkmcnt(3)
	v_mul_f64 v[189:190], v[177:178], v[102:103]
	v_mul_f64 v[191:192], v[48:49], v[102:103]
	v_fma_f64 v[98:99], v[40:41], v[90:91], v[94:95]
	v_fma_f64 v[94:95], v[173:174], v[90:91], -v[92:93]
	v_fma_f64 v[40:41], v[42:43], v[96:97], v[104:105]
	s_waitcnt vmcnt(15)
	v_mul_f64 v[90:91], v[179:180], v[119:120]
	v_fma_f64 v[92:93], v[175:176], v[96:97], -v[125:126]
	v_mul_f64 v[96:97], v[50:51], v[119:120]
	s_waitcnt lgkmcnt(2)
	v_mul_f64 v[104:105], v[22:23], v[123:124]
	v_fma_f64 v[102:103], v[48:49], v[100:101], v[189:190]
	s_waitcnt vmcnt(14) lgkmcnt(1)
	v_mul_f64 v[48:49], v[181:182], v[151:152]
	v_mul_f64 v[125:126], v[44:45], v[151:152]
	v_fma_f64 v[42:43], v[177:178], v[100:101], -v[191:192]
	ds_read2_b64 v[173:176], v140 offset0:80 offset1:205
	s_waitcnt vmcnt(13)
	v_mul_f64 v[100:101], v[183:184], v[155:156]
	s_waitcnt vmcnt(12) lgkmcnt(1)
	v_mul_f64 v[177:178], v[187:188], v[159:160]
	v_mul_f64 v[155:156], v[46:47], v[155:156]
	;; [unrolled: 1-line block ×3, first 2 shown]
	v_fma_f64 v[50:51], v[50:51], v[117:118], v[90:91]
	v_fma_f64 v[90:91], v[179:180], v[117:118], -v[96:97]
	v_fma_f64 v[104:105], v[2:3], v[121:122], v[104:105]
	ds_read2_b64 v[117:120], v144 offset0:92 offset1:217
	v_fma_f64 v[96:97], v[44:45], v[149:150], v[48:49]
	s_waitcnt vmcnt(11) lgkmcnt(1)
	v_mul_f64 v[189:190], v[173:174], v[163:164]
	v_mul_f64 v[163:164], v[36:37], v[163:164]
	v_fma_f64 v[44:45], v[181:182], v[149:150], -v[125:126]
	v_mul_f64 v[181:182], v[2:3], v[123:124]
	ds_read2_b64 v[149:152], v145 offset0:62 offset1:187
	s_waitcnt vmcnt(10)
	v_mul_f64 v[179:180], v[175:176], v[167:168]
	v_fma_f64 v[46:47], v[46:47], v[153:154], v[100:101]
	v_fma_f64 v[100:101], v[10:11], v[157:158], v[177:178]
	v_fma_f64 v[48:49], v[183:184], v[153:154], -v[155:156]
	v_mul_f64 v[153:154], v[38:39], v[167:168]
	v_fma_f64 v[10:11], v[187:188], v[157:158], -v[159:160]
	ds_read2_b64 v[123:126], v146 offset0:104 offset1:229
	s_waitcnt vmcnt(8) lgkmcnt(2)
	v_mul_f64 v[155:156], v[117:118], v[171:172]
	v_add_f64 v[157:158], v[104:105], v[102:103]
	v_fma_f64 v[2:3], v[36:37], v[161:162], v[189:190]
	v_fma_f64 v[36:37], v[173:174], v[161:162], -v[163:164]
	v_mul_f64 v[161:162], v[32:33], v[171:172]
	s_waitcnt vmcnt(6)
	v_mul_f64 v[159:160], v[119:120], v[86:87]
	v_mul_f64 v[163:164], v[34:35], v[86:87]
	s_waitcnt lgkmcnt(1)
	v_mul_f64 v[167:168], v[149:150], v[82:83]
	v_mul_f64 v[171:172], v[28:29], v[82:83]
	v_fma_f64 v[82:83], v[22:23], v[121:122], -v[181:182]
	v_add_f64 v[121:122], v[98:99], v[100:101]
	v_fma_f64 v[22:23], v[175:176], v[165:166], -v[153:154]
	v_mul_f64 v[153:154], v[30:31], v[78:79]
	v_fma_f64 v[86:87], v[38:39], v[165:166], v[179:180]
	v_mul_f64 v[173:174], v[151:152], v[78:79]
	s_waitcnt vmcnt(5) lgkmcnt(0)
	v_mul_f64 v[165:166], v[123:124], v[74:75]
	v_mov_b32_e32 v189, 0x3e8
	v_fma_f64 v[78:79], v[32:33], v[169:170], v[155:156]
	v_mul_f64 v[155:156], v[24:25], v[74:75]
	v_fma_f64 v[157:158], v[157:158], -0.5, v[12:13]
	v_mul_u32_u24_sdwa v115, v115, v189 dst_sel:DWORD dst_unused:UNUSED_PAD src0_sel:WORD_0 src1_sel:DWORD
	v_add_f64 v[175:176], v[40:41], v[2:3]
	v_add_f64 v[177:178], v[2:3], -v[50:51]
	v_fma_f64 v[32:33], v[117:118], v[169:170], -v[161:162]
	v_add_f64 v[161:162], v[94:95], -v[10:11]
	v_fma_f64 v[34:35], v[34:35], v[84:85], v[159:160]
	s_waitcnt vmcnt(4)
	v_mul_f64 v[159:160], v[125:126], v[70:71]
	v_mul_f64 v[169:170], v[26:27], v[70:71]
	v_fma_f64 v[38:39], v[119:120], v[84:85], -v[163:164]
	v_add_f64 v[163:164], v[96:97], v[50:51]
	v_fma_f64 v[84:85], v[28:29], v[80:81], v[167:168]
	v_fma_f64 v[70:71], v[149:150], v[80:81], -v[171:172]
	v_add_f64 v[80:81], v[12:13], v[104:105]
	v_fma_f64 v[12:13], v[121:122], -0.5, v[12:13]
	v_add_f64 v[121:122], v[82:83], -v[42:43]
	s_waitcnt vmcnt(3)
	v_mul_f64 v[149:150], v[185:186], v[66:67]
	ds_read2_b64 v[117:120], v148 offset0:74 offset1:199
	v_fma_f64 v[74:75], v[151:152], v[76:77], -v[153:154]
	v_mul_f64 v[151:152], v[8:9], v[66:67]
	v_fma_f64 v[30:31], v[30:31], v[76:77], v[173:174]
	v_fma_f64 v[76:77], v[24:25], v[72:73], v[165:166]
	v_add_f64 v[153:154], v[98:99], -v[104:105]
	v_add_f64 v[165:166], v[100:101], -v[102:103]
	v_fma_f64 v[28:29], v[123:124], v[72:73], -v[155:156]
	v_add_f64 v[155:156], v[44:45], -v[90:91]
	s_waitcnt vmcnt(2)
	v_mul_f64 v[171:172], v[16:17], v[62:63]
	v_fma_f64 v[72:73], v[161:162], s[8:9], v[157:158]
	v_fma_f64 v[123:124], v[161:162], s[2:3], v[157:158]
	;; [unrolled: 1-line block ×3, first 2 shown]
	v_fma_f64 v[24:25], v[125:126], v[68:69], -v[169:170]
	v_fma_f64 v[68:69], v[175:176], -0.5, v[14:15]
	v_add_f64 v[125:126], v[14:15], v[96:97]
	v_fma_f64 v[14:15], v[163:164], -0.5, v[14:15]
	v_add_f64 v[157:158], v[92:93], -v[36:37]
	v_add_f64 v[159:160], v[104:105], -v[98:99]
	;; [unrolled: 1-line block ×3, first 2 shown]
	v_add_f64 v[80:81], v[80:81], v[98:99]
	v_fma_f64 v[167:168], v[121:122], s[2:3], v[12:13]
	s_waitcnt lgkmcnt(0)
	v_mul_f64 v[169:170], v[117:118], v[62:63]
	v_fma_f64 v[66:67], v[8:9], v[64:65], v[149:150]
	ds_read_b64 v[149:150], v137 offset:24000
	v_fma_f64 v[62:63], v[185:186], v[64:65], -v[151:152]
	s_waitcnt vmcnt(1)
	v_mul_f64 v[151:152], v[18:19], v[58:59]
	v_fma_f64 v[12:13], v[121:122], s[8:9], v[12:13]
	v_mul_f64 v[8:9], v[119:120], v[58:59]
	v_add_f64 v[153:154], v[153:154], v[165:166]
	v_add_f64 v[165:166], v[50:51], -v[2:3]
	v_add_f64 v[173:174], v[40:41], -v[96:97]
	v_fma_f64 v[72:73], v[121:122], s[6:7], v[72:73]
	v_fma_f64 v[121:122], v[121:122], s[14:15], v[123:124]
	v_add_f64 v[123:124], v[96:97], -v[40:41]
	v_add_f64 v[98:99], v[98:99], -v[100:101]
	v_fma_f64 v[175:176], v[155:156], s[2:3], v[68:69]
	v_add_f64 v[125:126], v[125:126], v[40:41]
	v_fma_f64 v[68:69], v[155:156], s[8:9], v[68:69]
	v_fma_f64 v[179:180], v[157:158], s[8:9], v[14:15]
	;; [unrolled: 1-line block ×3, first 2 shown]
	v_add_f64 v[159:160], v[159:160], v[163:164]
	v_add_f64 v[80:81], v[80:81], v[100:101]
	v_fma_f64 v[163:164], v[161:162], s[6:7], v[167:168]
	v_fma_f64 v[64:65], v[16:17], v[60:61], v[169:170]
	v_fma_f64 v[16:17], v[117:118], v[60:61], -v[171:172]
	s_waitcnt vmcnt(0) lgkmcnt(0)
	v_mul_f64 v[60:61], v[149:150], v[54:55]
	v_mul_f64 v[117:118], v[88:89], v[54:55]
	v_fma_f64 v[54:55], v[119:120], v[56:57], -v[151:152]
	v_fma_f64 v[151:152], v[161:162], s[14:15], v[12:13]
	v_fma_f64 v[58:59], v[18:19], v[56:57], v[8:9]
	v_mul_u32_u24_sdwa v12, v110, v189 dst_sel:DWORD dst_unused:UNUSED_PAD src0_sel:WORD_0 src1_sel:DWORD
	v_lshlrev_b32_sdwa v13, v112, v116 dst_sel:DWORD dst_unused:UNUSED_PAD src0_sel:DWORD src1_sel:BYTE_0
	v_add_f64 v[8:9], v[78:79], v[86:87]
	v_fma_f64 v[72:73], v[153:154], s[4:5], v[72:73]
	v_fma_f64 v[120:121], v[153:154], s[4:5], v[121:122]
	v_add_f64 v[122:123], v[123:124], v[165:166]
	v_add_f64 v[153:154], v[173:174], v[177:178]
	v_add3_u32 v56, 0, v12, v13
	v_add_f64 v[124:125], v[125:126], v[2:3]
	v_fma_f64 v[126:127], v[157:158], s[6:7], v[175:176]
	v_fma_f64 v[161:162], v[155:156], s[6:7], v[179:180]
	;; [unrolled: 1-line block ×3, first 2 shown]
	ds_read2_b64 v[12:15], v137 offset1:125
	v_add_f64 v[80:81], v[80:81], v[102:103]
	v_fma_f64 v[155:156], v[159:160], s[4:5], v[163:164]
	v_add_f64 v[163:164], v[4:5], v[46:47]
	v_mul_u32_u24_sdwa v57, v108, v189 dst_sel:DWORD dst_unused:UNUSED_PAD src0_sel:WORD_0 src1_sel:DWORD
	v_fma_f64 v[60:61], v[88:89], v[52:53], v[60:61]
	v_fma_f64 v[18:19], v[149:150], v[52:53], -v[117:118]
	v_add_f64 v[52:53], v[46:47], v[84:85]
	v_fma_f64 v[149:150], v[159:160], s[4:5], v[151:152]
	v_add_f64 v[151:152], v[76:77], v[30:31]
	v_add_f64 v[159:160], v[34:35], v[64:65]
	ds_read2_b64 v[116:119], v143 offset0:122 offset1:247
	s_waitcnt lgkmcnt(0)
	s_barrier
	buffer_gl0_inv
	v_lshlrev_b32_sdwa v110, v112, v109 dst_sel:DWORD dst_unused:UNUSED_PAD src0_sel:DWORD src1_sel:BYTE_0
	v_fma_f64 v[8:9], v[8:9], -0.5, v[4:5]
	v_add_f64 v[88:89], v[48:49], -v[70:71]
	v_add_f64 v[124:125], v[124:125], v[50:51]
	v_fma_f64 v[126:127], v[122:123], s[4:5], v[126:127]
	v_fma_f64 v[161:162], v[153:154], s[4:5], v[161:162]
	v_fma_f64 v[153:154], v[153:154], s[4:5], v[165:166]
	v_fma_f64 v[68:69], v[157:158], s[14:15], v[68:69]
	v_add_f64 v[157:158], v[46:47], -v[78:79]
	ds_write2_b64 v56, v[80:81], v[155:156] offset1:25
	v_add_f64 v[80:81], v[66:67], v[58:59]
	v_add_f64 v[165:166], v[84:85], -v[86:87]
	v_add_f64 v[155:156], v[26:27], v[60:61]
	v_add_f64 v[167:168], v[32:33], -v[22:23]
	v_fma_f64 v[4:5], v[52:53], -0.5, v[4:5]
	v_add3_u32 v52, 0, v57, v110
	v_add_f64 v[163:164], v[163:164], v[78:79]
	v_add_f64 v[169:170], v[78:79], -v[46:47]
	v_add_f64 v[171:172], v[86:87], -v[84:85]
	ds_write2_b64 v56, v[72:73], v[120:121] offset0:50 offset1:75
	v_fma_f64 v[72:73], v[151:152], -0.5, v[6:7]
	v_add_f64 v[120:121], v[38:39], -v[16:17]
	ds_write_b64 v56, v[149:150] offset:800
	v_fma_f64 v[149:150], v[159:160], -0.5, v[6:7]
	v_add_f64 v[151:152], v[28:29], -v[74:75]
	v_add_f64 v[6:7], v[6:7], v[76:77]
	ds_write2_b64 v52, v[124:125], v[126:127] offset1:25
	ds_write2_b64 v52, v[161:162], v[153:154] offset0:50 offset1:75
	v_add_f64 v[153:154], v[62:63], -v[54:55]
	v_fma_f64 v[108:109], v[88:89], s[2:3], v[8:9]
	v_fma_f64 v[68:69], v[122:123], s[4:5], v[68:69]
	;; [unrolled: 1-line block ×3, first 2 shown]
	v_fma_f64 v[80:81], v[80:81], -0.5, v[0:1]
	v_add_f64 v[122:123], v[157:158], v[165:166]
	v_fma_f64 v[126:127], v[155:156], -0.5, v[0:1]
	v_add_f64 v[155:156], v[24:25], -v[18:19]
	v_add_f64 v[0:1], v[0:1], v[26:27]
	v_fma_f64 v[157:158], v[167:168], s[8:9], v[4:5]
	v_fma_f64 v[4:5], v[167:168], s[2:3], v[4:5]
	v_add_f64 v[124:125], v[163:164], v[86:87]
	v_add_f64 v[159:160], v[169:170], v[171:172]
	v_add_f64 v[161:162], v[34:35], -v[76:77]
	v_add_f64 v[163:164], v[64:65], -v[30:31]
	v_fma_f64 v[165:166], v[120:121], s[8:9], v[72:73]
	v_fma_f64 v[72:73], v[120:121], s[2:3], v[72:73]
	v_add_f64 v[169:170], v[76:77], -v[34:35]
	v_fma_f64 v[171:172], v[151:152], s[2:3], v[149:150]
	v_add_f64 v[175:176], v[30:31], -v[64:65]
	v_add_f64 v[6:7], v[6:7], v[34:35]
	v_fma_f64 v[149:150], v[151:152], s[8:9], v[149:150]
	v_add_f64 v[177:178], v[26:27], -v[66:67]
	v_add_f64 v[179:180], v[60:61], -v[58:59]
	;; [unrolled: 1-line block ×4, first 2 shown]
	v_fma_f64 v[108:109], v[167:168], s[6:7], v[108:109]
	v_fma_f64 v[8:9], v[167:168], s[14:15], v[8:9]
	v_fma_f64 v[185:186], v[153:154], s[8:9], v[126:127]
	v_fma_f64 v[187:188], v[155:156], s[2:3], v[80:81]
	v_add_f64 v[0:1], v[0:1], v[66:67]
	v_fma_f64 v[126:127], v[153:154], s[2:3], v[126:127]
	v_fma_f64 v[157:158], v[88:89], s[6:7], v[157:158]
	;; [unrolled: 1-line block ×3, first 2 shown]
	v_add_f64 v[173:174], v[94:95], v[10:11]
	v_add_f64 v[124:125], v[124:125], v[84:85]
	;; [unrolled: 1-line block ×3, first 2 shown]
	v_fma_f64 v[163:164], v[151:152], s[6:7], v[165:166]
	v_fma_f64 v[72:73], v[151:152], s[14:15], v[72:73]
	;; [unrolled: 1-line block ×4, first 2 shown]
	v_add_f64 v[151:152], v[169:170], v[175:176]
	v_add_f64 v[6:7], v[6:7], v[64:65]
	v_fma_f64 v[120:121], v[120:121], s[14:15], v[149:150]
	v_add_f64 v[161:162], v[12:13], v[82:83]
	v_add_f64 v[149:150], v[177:178], v[179:180]
	ds_write_b64 v52, v[68:69] offset:800
	v_add_f64 v[167:168], v[181:182], v[183:184]
	v_fma_f64 v[108:109], v[122:123], s[4:5], v[108:109]
	v_fma_f64 v[8:9], v[122:123], s[4:5], v[8:9]
	;; [unrolled: 1-line block ×4, first 2 shown]
	v_add_f64 v[0:1], v[0:1], v[58:59]
	v_fma_f64 v[126:127], v[155:156], s[14:15], v[126:127]
	v_fma_f64 v[68:69], v[159:160], s[4:5], v[157:158]
	;; [unrolled: 1-line block ×3, first 2 shown]
	v_mul_u32_u24_sdwa v53, v106, v189 dst_sel:DWORD dst_unused:UNUSED_PAD src0_sel:WORD_0 src1_sel:DWORD
	v_lshlrev_b32_sdwa v57, v112, v107 dst_sel:DWORD dst_unused:UNUSED_PAD src0_sel:DWORD src1_sel:WORD_0
	v_add_f64 v[102:103], v[104:105], -v[102:103]
	v_fma_f64 v[122:123], v[88:89], s[4:5], v[163:164]
	v_fma_f64 v[72:73], v[88:89], s[4:5], v[72:73]
	v_fma_f64 v[104:105], v[173:174], -0.5, v[12:13]
	v_add3_u32 v163, 0, v53, v57
	v_fma_f64 v[88:89], v[151:152], s[4:5], v[165:166]
	v_add_f64 v[6:7], v[6:7], v[30:31]
	v_fma_f64 v[120:121], v[151:152], s[4:5], v[120:121]
	v_mul_u32_u24_sdwa v53, v113, v189 dst_sel:DWORD dst_unused:UNUSED_PAD src0_sel:WORD_0 src1_sel:DWORD
	v_lshlrev_b32_sdwa v57, v112, v114 dst_sel:DWORD dst_unused:UNUSED_PAD src0_sel:DWORD src1_sel:WORD_0
	v_lshlrev_b32_sdwa v112, v112, v111 dst_sel:DWORD dst_unused:UNUSED_PAD src0_sel:DWORD src1_sel:WORD_0
	v_add_f64 v[113:114], v[92:93], v[36:37]
	v_fma_f64 v[80:81], v[153:154], s[14:15], v[80:81]
	v_add_f64 v[155:156], v[161:162], v[94:95]
	v_fma_f64 v[151:152], v[167:168], s[4:5], v[169:170]
	v_fma_f64 v[159:160], v[149:150], s[4:5], v[171:172]
	v_add_f64 v[0:1], v[0:1], v[60:61]
	v_fma_f64 v[126:127], v[167:168], s[4:5], v[126:127]
	v_add3_u32 v164, 0, v53, v57
	v_add3_u32 v165, 0, v115, v112
	v_add_f64 v[157:158], v[82:83], v[42:43]
	ds_write2_b64 v163, v[124:125], v[108:109] offset1:25
	ds_write2_b64 v163, v[68:69], v[4:5] offset0:50 offset1:75
	v_add_f64 v[4:5], v[44:45], v[90:91]
	ds_write_b64 v163, v[8:9] offset:800
	ds_write2_b64 v164, v[6:7], v[88:89] offset1:25
	ds_write2_b64 v164, v[122:123], v[72:73] offset0:50 offset1:75
	ds_write_b64 v164, v[120:121] offset:800
	ds_write2_b64 v165, v[0:1], v[159:160] offset1:25
	ds_write2_b64 v165, v[151:152], v[126:127] offset0:50 offset1:75
	v_add_f64 v[72:73], v[14:15], v[44:45]
	v_add_f64 v[106:107], v[82:83], -v[94:95]
	v_add_f64 v[0:1], v[32:33], v[22:23]
	v_add_f64 v[6:7], v[94:95], -v[82:83]
	v_add_f64 v[68:69], v[10:11], -v[42:43]
	v_fma_f64 v[82:83], v[113:114], -0.5, v[14:15]
	v_add_f64 v[50:51], v[96:97], -v[50:51]
	v_add_f64 v[153:154], v[42:43], -v[10:11]
	v_fma_f64 v[100:101], v[102:103], s[8:9], v[104:105]
	v_fma_f64 v[80:81], v[149:150], s[4:5], v[80:81]
	v_add_f64 v[110:111], v[155:156], v[10:11]
	v_fma_f64 v[12:13], v[157:158], -0.5, v[12:13]
	v_fma_f64 v[104:105], v[102:103], s[2:3], v[104:105]
	v_fma_f64 v[4:5], v[4:5], -0.5, v[14:15]
	v_add_f64 v[108:109], v[40:41], -v[2:3]
	v_add_f64 v[84:85], v[46:47], -v[84:85]
	v_add_f64 v[114:115], v[116:117], v[48:49]
	v_add_f64 v[120:121], v[38:39], v[16:17]
	;; [unrolled: 1-line block ×3, first 2 shown]
	v_add_f64 v[122:123], v[36:37], -v[90:91]
	v_add_f64 v[151:152], v[24:25], v[18:19]
	v_add_f64 v[14:15], v[44:45], -v[92:93]
	v_add_f64 v[46:47], v[72:73], v[92:93]
	v_add_f64 v[72:73], v[48:49], v[70:71]
	v_fma_f64 v[112:113], v[0:1], -0.5, v[116:117]
	v_add_f64 v[92:93], v[92:93], -v[44:45]
	v_add_f64 v[68:69], v[6:7], v[68:69]
	v_add_f64 v[78:79], v[78:79], -v[86:87]
	v_fma_f64 v[6:7], v[50:51], s[8:9], v[82:83]
	v_fma_f64 v[82:83], v[50:51], s[2:3], v[82:83]
	v_add_f64 v[106:107], v[106:107], v[153:154]
	v_fma_f64 v[100:101], v[98:99], s[14:15], v[100:101]
	ds_write_b64 v165, v[80:81] offset:800
	v_add_f64 v[80:81], v[110:111], v[42:43]
	v_fma_f64 v[88:89], v[98:99], s[2:3], v[12:13]
	v_fma_f64 v[12:13], v[98:99], s[8:9], v[12:13]
	v_add_f64 v[110:111], v[90:91], -v[36:37]
	v_fma_f64 v[97:98], v[98:99], s[6:7], v[104:105]
	v_fma_f64 v[104:105], v[108:109], s[2:3], v[4:5]
	;; [unrolled: 1-line block ×3, first 2 shown]
	v_add_f64 v[76:77], v[76:77], -v[30:31]
	v_add_f64 v[34:35], v[34:35], -v[64:65]
	;; [unrolled: 1-line block ×4, first 2 shown]
	v_add_f64 v[153:154], v[46:47], v[36:37]
	v_add_f64 v[36:37], v[62:63], v[54:55]
	v_fma_f64 v[86:87], v[84:85], s[8:9], v[112:113]
	v_fma_f64 v[30:31], v[84:85], s[2:3], v[112:113]
	v_add_f64 v[112:113], v[118:119], v[28:29]
	v_add_f64 v[26:27], v[26:27], -v[60:61]
	v_fma_f64 v[155:156], v[108:109], s[14:15], v[6:7]
	v_fma_f64 v[6:7], v[72:73], -0.5, v[116:117]
	v_fma_f64 v[72:73], v[108:109], s[6:7], v[82:83]
	v_add_f64 v[82:83], v[114:115], v[32:33]
	v_fma_f64 v[108:109], v[120:121], -0.5, v[118:119]
	v_fma_f64 v[114:115], v[124:125], -0.5, v[118:119]
	v_add_f64 v[57:58], v[66:67], -v[58:59]
	v_add_f64 v[66:67], v[28:29], -v[38:39]
	;; [unrolled: 1-line block ×3, first 2 shown]
	v_add_f64 v[92:93], v[92:93], v[122:123]
	v_fma_f64 v[104:105], v[50:51], s[14:15], v[104:105]
	v_fma_f64 v[64:65], v[50:51], s[6:7], v[4:5]
	v_add_f64 v[4:5], v[32:33], -v[48:49]
	v_add_f64 v[32:33], v[20:21], v[24:25]
	v_fma_f64 v[48:49], v[151:152], -0.5, v[20:21]
	v_add_f64 v[50:51], v[22:23], -v[70:71]
	v_add_f64 v[122:123], v[16:17], -v[74:75]
	v_fma_f64 v[36:37], v[36:37], -0.5, v[20:21]
	v_add_f64 v[116:117], v[126:127], v[149:150]
	v_add_f64 v[126:127], v[24:25], -v[62:63]
	v_add_f64 v[112:113], v[112:113], v[38:39]
	v_add_f64 v[38:39], v[38:39], -v[28:29]
	v_add_f64 v[149:150], v[18:19], -v[54:55]
	v_fma_f64 v[59:60], v[78:79], s[2:3], v[6:7]
	v_fma_f64 v[6:7], v[78:79], s[8:9], v[6:7]
	v_add_f64 v[24:25], v[62:63], -v[24:25]
	v_fma_f64 v[120:121], v[76:77], s[8:9], v[108:109]
	v_fma_f64 v[108:109], v[76:77], s[2:3], v[108:109]
	v_fma_f64 v[124:125], v[34:35], s[2:3], v[114:115]
	v_fma_f64 v[114:115], v[34:35], s[8:9], v[114:115]
	v_add_f64 v[66:67], v[66:67], v[118:119]
	v_fma_f64 v[88:89], v[102:103], s[14:15], v[88:89]
	v_fma_f64 v[102:103], v[102:103], s[6:7], v[12:13]
	v_add_f64 v[110:111], v[14:15], v[110:111]
	v_fma_f64 v[86:87], v[78:79], s[14:15], v[86:87]
	v_add_f64 v[32:33], v[32:33], v[62:63]
	v_add_f64 v[61:62], v[54:55], -v[18:19]
	v_fma_f64 v[151:152], v[57:58], s[2:3], v[48:49]
	v_fma_f64 v[157:158], v[57:58], s[8:9], v[48:49]
	;; [unrolled: 1-line block ×4, first 2 shown]
	v_add_f64 v[82:83], v[82:83], v[22:23]
	v_add_f64 v[159:160], v[4:5], v[50:51]
	;; [unrolled: 1-line block ×4, first 2 shown]
	v_fma_f64 v[59:60], v[84:85], s[14:15], v[59:60]
	v_fma_f64 v[84:85], v[84:85], s[6:7], v[6:7]
	v_fma_f64 v[78:79], v[78:79], s[6:7], v[30:31]
	v_fma_f64 v[120:121], v[34:35], s[14:15], v[120:121]
	v_fma_f64 v[108:109], v[34:35], s[6:7], v[108:109]
	v_fma_f64 v[122:123], v[76:77], s[14:15], v[124:125]
	v_fma_f64 v[76:77], v[76:77], s[6:7], v[114:115]
	v_add_f64 v[114:115], v[126:127], v[149:150]
	v_fma_f64 v[100:101], v[106:107], s[4:5], v[100:101]
	v_fma_f64 v[104:105], v[92:93], s[4:5], v[104:105]
	;; [unrolled: 1-line block ×4, first 2 shown]
	v_add_f64 v[53:54], v[32:33], v[54:55]
	v_add_f64 v[24:25], v[24:25], v[61:62]
	v_fma_f64 v[61:62], v[26:27], s[14:15], v[151:152]
	v_fma_f64 v[26:27], v[26:27], s[6:7], v[157:158]
	v_fma_f64 v[124:125], v[57:58], s[14:15], v[161:162]
	v_fma_f64 v[57:58], v[57:58], s[6:7], v[118:119]
	v_fma_f64 v[68:69], v[68:69], s[4:5], v[102:103]
	v_fma_f64 v[72:73], v[110:111], s[4:5], v[72:73]
	v_fma_f64 v[97:98], v[106:107], s[4:5], v[97:98]
	v_add_f64 v[90:91], v[153:154], v[90:91]
	v_fma_f64 v[102:103], v[110:111], s[4:5], v[155:156]
	v_add_f64 v[70:71], v[82:83], v[70:71]
	v_fma_f64 v[82:83], v[116:117], s[4:5], v[86:87]
	v_fma_f64 v[59:60], v[159:160], s[4:5], v[59:60]
	;; [unrolled: 1-line block ×3, first 2 shown]
	v_add_f64 v[74:75], v[16:17], v[74:75]
	v_fma_f64 v[86:87], v[66:67], s[4:5], v[120:121]
	v_fma_f64 v[65:66], v[66:67], s[4:5], v[108:109]
	;; [unrolled: 1-line block ×5, first 2 shown]
	s_waitcnt lgkmcnt(0)
	v_add_f64 v[53:54], v[53:54], v[18:19]
	s_barrier
	v_fma_f64 v[61:62], v[24:25], s[4:5], v[61:62]
	v_fma_f64 v[24:25], v[24:25], s[4:5], v[26:27]
	;; [unrolled: 1-line block ×4, first 2 shown]
	v_mov_b32_e32 v57, 0x625
	buffer_gl0_inv
	ds_read_b64 v[95:96], v137 offset:24000
	ds_read2_b64 v[8:11], v137 offset1:125
	ds_read2_b64 v[0:3], v141 offset0:116 offset1:241
	ds_read2_b64 v[40:43], v138 offset0:98 offset1:223
	;; [unrolled: 1-line block ×3, first 2 shown]
	v_mul_u32_u24_sdwa v55, v133, v57 dst_sel:DWORD dst_unused:UNUSED_PAD src0_sel:WORD_0 src1_sel:DWORD
	v_mul_u32_u24_sdwa v58, v134, v57 dst_sel:DWORD dst_unused:UNUSED_PAD src0_sel:WORD_0 src1_sel:DWORD
	ds_read2_b64 v[44:47], v139 offset0:68 offset1:193
	ds_read2_b64 v[20:23], v142 offset0:110 offset1:235
	;; [unrolled: 1-line block ×8, first 2 shown]
	s_waitcnt lgkmcnt(0)
	s_barrier
	buffer_gl0_inv
	ds_write2_b64 v56, v[80:81], v[100:101] offset1:25
	ds_write2_b64 v56, v[88:89], v[68:69] offset0:50 offset1:75
	ds_write_b64 v56, v[97:98] offset:800
	ds_write2_b64 v52, v[90:91], v[102:103] offset1:25
	ds_write2_b64 v52, v[104:105], v[63:64] offset0:50 offset1:75
	ds_write_b64 v52, v[72:73] offset:800
	v_lshrrev_b32_e32 v52, 16, v55
	v_lshrrev_b32_e32 v58, 16, v58
	v_lshlrev_b32_e32 v91, 2, v136
	v_mov_b32_e32 v92, 0
	ds_write2_b64 v163, v[70:71], v[82:83] offset1:25
	ds_write2_b64 v163, v[59:60], v[84:85] offset0:50 offset1:75
	ds_write_b64 v163, v[78:79] offset:800
	v_sub_nc_u16 v59, v133, v52
	ds_write2_b64 v164, v[74:75], v[86:87] offset1:25
	ds_write2_b64 v164, v[93:94], v[76:77] offset0:50 offset1:75
	ds_write_b64 v164, v[65:66] offset:800
	ds_write2_b64 v165, v[53:54], v[106:107] offset1:25
	ds_write2_b64 v165, v[61:62], v[24:25] offset0:50 offset1:75
	v_sub_nc_u16 v24, v134, v58
	v_lshlrev_b64 v[55:56], 4, v[91:92]
	v_lshrrev_b16 v59, 1, v59
	ds_write_b64 v165, v[26:27] offset:800
	s_waitcnt lgkmcnt(0)
	v_lshrrev_b16 v24, 1, v24
	s_barrier
	v_add_nc_u16 v25, v59, v52
	v_add_co_u32 v93, s0, s12, v55
	v_add_nc_u16 v24, v24, v58
	v_add_co_ci_u32_e64 v94, s0, s13, v56, s0
	v_lshrrev_b16 v25, 6, v25
	buffer_gl0_inv
	v_lshrrev_b16 v24, 6, v24
	s_clause 0x2
	global_load_dwordx4 v[97:100], v[93:94], off offset:1936
	global_load_dwordx4 v[109:112], v[93:94], off offset:1968
	;; [unrolled: 1-line block ×3, first 2 shown]
	v_mul_lo_u16 v25, 0x7d, v25
	v_mul_lo_u16 v24, 0x7d, v24
	v_sub_nc_u16 v25, v133, v25
	v_sub_nc_u16 v24, v134, v24
	v_and_b32_e32 v114, 0xffff, v25
	v_and_b32_e32 v113, 0xffff, v24
	v_mul_u32_u24_sdwa v24, v135, v57 dst_sel:DWORD dst_unused:UNUSED_PAD src0_sel:WORD_0 src1_sel:DWORD
	v_lshlrev_b32_e32 v25, 6, v114
	v_lshlrev_b32_e32 v26, 6, v113
	v_lshrrev_b32_e32 v24, 16, v24
	s_clause 0x2
	global_load_dwordx4 v[116:119], v25, s[12:13] offset:1936
	global_load_dwordx4 v[120:123], v[93:94], off offset:1920
	global_load_dwordx4 v[124:127], v26, s[12:13] offset:1936
	v_sub_nc_u16 v27, v135, v24
	s_clause 0x2
	global_load_dwordx4 v[149:152], v25, s[12:13] offset:1968
	global_load_dwordx4 v[84:87], v26, s[12:13] offset:1968
	;; [unrolled: 1-line block ×3, first 2 shown]
	v_lshrrev_b16 v27, 1, v27
	v_add_nc_u16 v24, v27, v24
	v_lshrrev_b16 v24, 6, v24
	v_mul_lo_u16 v24, 0x7d, v24
	v_sub_nc_u16 v24, v135, v24
	v_and_b32_e32 v115, 0xffff, v24
	v_lshlrev_b32_e32 v24, 6, v115
	s_clause 0x6
	global_load_dwordx4 v[80:83], v24, s[12:13] offset:1920
	global_load_dwordx4 v[76:79], v25, s[12:13] offset:1952
	;; [unrolled: 1-line block ×7, first 2 shown]
	ds_read2_b64 v[101:104], v138 offset0:98 offset1:223
	ds_read2_b64 v[153:156], v139 offset0:68 offset1:193
	;; [unrolled: 1-line block ×8, first 2 shown]
	s_waitcnt vmcnt(15) lgkmcnt(7)
	v_mul_f64 v[105:106], v[101:102], v[99:100]
	v_mul_f64 v[107:108], v[103:104], v[99:100]
	;; [unrolled: 1-line block ×4, first 2 shown]
	s_waitcnt vmcnt(14) lgkmcnt(6)
	v_mul_f64 v[181:182], v[153:154], v[111:112]
	v_mul_f64 v[183:184], v[155:156], v[111:112]
	;; [unrolled: 1-line block ×4, first 2 shown]
	s_waitcnt vmcnt(13) lgkmcnt(4)
	v_mul_f64 v[189:190], v[163:164], v[74:75]
	v_fma_f64 v[105:106], v[40:41], v[97:98], v[105:106]
	s_waitcnt vmcnt(12)
	v_mul_f64 v[187:188], v[157:158], v[118:119]
	v_mul_f64 v[118:119], v[48:49], v[118:119]
	v_fma_f64 v[99:100], v[42:43], v[97:98], v[107:108]
	v_fma_f64 v[101:102], v[101:102], v[97:98], -v[177:178]
	v_fma_f64 v[97:98], v[103:104], v[97:98], -v[179:180]
	s_waitcnt vmcnt(11) lgkmcnt(3)
	v_mul_f64 v[177:178], v[26:27], v[122:123]
	s_waitcnt vmcnt(10)
	v_mul_f64 v[179:180], v[159:160], v[126:127]
	v_fma_f64 v[107:108], v[44:45], v[109:110], v[181:182]
	s_waitcnt lgkmcnt(2)
	v_mul_f64 v[181:182], v[165:166], v[74:75]
	s_waitcnt lgkmcnt(1)
	v_mul_f64 v[191:192], v[169:170], v[122:123]
	v_fma_f64 v[46:47], v[46:47], v[109:110], v[183:184]
	v_fma_f64 v[103:104], v[153:154], v[109:110], -v[185:186]
	v_mul_f64 v[126:127], v[50:51], v[126:127]
	v_fma_f64 v[40:41], v[155:156], v[109:110], -v[111:112]
	s_waitcnt vmcnt(9) lgkmcnt(0)
	v_mul_f64 v[153:154], v[173:174], v[151:152]
	v_mul_f64 v[151:152], v[36:37], v[151:152]
	s_waitcnt vmcnt(8)
	v_mul_f64 v[155:156], v[175:176], v[86:87]
	v_mul_f64 v[183:184], v[14:15], v[74:75]
	v_fma_f64 v[44:45], v[48:49], v[116:117], v[187:188]
	v_fma_f64 v[42:43], v[157:158], v[116:117], -v[118:119]
	v_fma_f64 v[48:49], v[14:15], v[72:73], v[189:190]
	v_mul_f64 v[157:158], v[2:3], v[122:123]
	v_mul_f64 v[122:123], v[20:21], v[122:123]
	v_fma_f64 v[2:3], v[2:3], v[120:121], v[177:178]
	v_fma_f64 v[14:15], v[50:51], v[124:125], v[179:180]
	v_mul_f64 v[50:51], v[28:29], v[74:75]
	v_fma_f64 v[109:110], v[28:29], v[72:73], v[181:182]
	v_fma_f64 v[111:112], v[20:21], v[120:121], v[191:192]
	ds_read2_b64 v[116:119], v146 offset0:104 offset1:229
	v_fma_f64 v[20:21], v[159:160], v[124:125], -v[126:127]
	v_mul_f64 v[124:125], v[38:39], v[86:87]
	s_waitcnt vmcnt(7)
	v_mul_f64 v[159:160], v[32:33], v[90:91]
	v_fma_f64 v[74:75], v[36:37], v[149:150], v[153:154]
	v_fma_f64 v[28:29], v[173:174], v[149:150], -v[151:152]
	v_fma_f64 v[38:39], v[38:39], v[84:85], v[155:156]
	s_waitcnt vmcnt(6)
	v_mul_f64 v[155:156], v[34:35], v[82:83]
	v_add_f64 v[149:150], v[105:106], v[48:49]
	v_fma_f64 v[86:87], v[26:27], v[120:121], -v[157:158]
	s_waitcnt vmcnt(5)
	v_mul_f64 v[157:158], v[167:168], v[78:79]
	v_add_f64 v[151:152], v[2:3], v[107:108]
	v_fma_f64 v[50:51], v[165:166], v[72:73], -v[50:51]
	s_waitcnt lgkmcnt(0)
	v_mul_f64 v[126:127], v[116:117], v[90:91]
	v_fma_f64 v[90:91], v[163:164], v[72:73], -v[183:184]
	v_mul_f64 v[153:154], v[118:119], v[82:83]
	v_mul_f64 v[163:164], v[30:31], v[78:79]
	v_fma_f64 v[78:79], v[169:170], v[120:121], -v[122:123]
	v_add_f64 v[120:121], v[99:100], v[109:110]
	v_add_f64 v[122:123], v[111:112], v[46:47]
	v_fma_f64 v[36:37], v[175:176], v[84:85], -v[124:125]
	v_fma_f64 v[26:27], v[116:117], v[88:89], -v[159:160]
	s_waitcnt vmcnt(4)
	v_mul_f64 v[116:117], v[12:13], v[70:71]
	v_add_f64 v[124:125], v[8:9], v[2:3]
	ds_read2_b64 v[82:85], v148 offset0:74 offset1:199
	v_add_f64 v[165:166], v[105:106], -v[2:3]
	v_add_f64 v[169:170], v[99:100], -v[111:112]
	;; [unrolled: 1-line block ×3, first 2 shown]
	v_fma_f64 v[151:152], v[151:152], -0.5, v[8:9]
	v_fma_f64 v[72:73], v[32:33], v[88:89], v[126:127]
	v_mul_f64 v[88:89], v[161:162], v[70:71]
	v_fma_f64 v[126:127], v[149:150], -0.5, v[8:9]
	v_add_f64 v[149:150], v[86:87], -v[103:104]
	v_add_f64 v[159:160], v[101:102], -v[90:91]
	v_fma_f64 v[34:35], v[34:35], v[80:81], v[153:154]
	s_waitcnt vmcnt(3)
	v_mul_f64 v[153:154], v[171:172], v[66:67]
	v_fma_f64 v[32:33], v[118:119], v[80:81], -v[155:156]
	v_fma_f64 v[8:9], v[30:31], v[76:77], v[157:158]
	v_fma_f64 v[30:31], v[167:168], v[76:77], -v[163:164]
	v_fma_f64 v[76:77], v[120:121], -0.5, v[10:11]
	v_fma_f64 v[80:81], v[122:123], -0.5, v[10:11]
	v_add_f64 v[118:119], v[78:79], -v[40:41]
	v_add_f64 v[120:121], v[97:98], -v[50:51]
	v_add_f64 v[10:11], v[10:11], v[111:112]
	ds_read_b64 v[155:156], v137 offset:24000
	s_waitcnt vmcnt(2) lgkmcnt(1)
	v_mul_f64 v[122:123], v[82:83], v[62:63]
	v_add_f64 v[157:158], v[2:3], -v[105:106]
	v_add_f64 v[163:164], v[107:108], -v[48:49]
	;; [unrolled: 1-line block ×3, first 2 shown]
	v_mul_f64 v[66:67], v[22:23], v[66:67]
	v_mul_f64 v[62:63], v[16:17], v[62:63]
	s_waitcnt vmcnt(1)
	v_mul_f64 v[179:180], v[84:85], v[58:59]
	v_fma_f64 v[70:71], v[12:13], v[68:69], v[88:89]
	v_add_f64 v[88:89], v[124:125], v[105:106]
	v_fma_f64 v[124:125], v[149:150], s[2:3], v[126:127]
	v_fma_f64 v[12:13], v[161:162], v[68:69], -v[116:117]
	v_fma_f64 v[68:69], v[159:160], s[8:9], v[151:152]
	v_fma_f64 v[116:117], v[22:23], v[64:65], v[153:154]
	v_fma_f64 v[151:152], v[159:160], s[2:3], v[151:152]
	v_fma_f64 v[126:127], v[149:150], s[8:9], v[126:127]
	v_add_f64 v[153:154], v[111:112], -v[99:100]
	v_add_f64 v[161:162], v[46:47], -v[109:110]
	;; [unrolled: 1-line block ×3, first 2 shown]
	v_fma_f64 v[175:176], v[118:119], s[2:3], v[76:77]
	v_fma_f64 v[177:178], v[120:121], s[8:9], v[80:81]
	v_add_f64 v[10:11], v[10:11], v[99:100]
	s_waitcnt vmcnt(0) lgkmcnt(0)
	v_mul_f64 v[181:182], v[155:156], v[54:55]
	v_fma_f64 v[122:123], v[16:17], v[60:61], v[122:123]
	v_fma_f64 v[76:77], v[118:119], s[8:9], v[76:77]
	v_add_f64 v[157:158], v[157:158], v[163:164]
	v_mul_f64 v[163:164], v[18:19], v[58:59]
	v_add_f64 v[165:166], v[165:166], v[167:168]
	v_fma_f64 v[22:23], v[171:172], v[64:65], -v[66:67]
	v_add_f64 v[64:65], v[44:45], v[8:9]
	v_mul_f64 v[167:168], v[95:96], v[54:55]
	v_add_f64 v[88:89], v[88:89], v[48:49]
	v_fma_f64 v[124:125], v[159:160], s[6:7], v[124:125]
	v_fma_f64 v[58:59], v[82:83], v[60:61], -v[62:63]
	v_fma_f64 v[68:69], v[149:150], s[6:7], v[68:69]
	v_fma_f64 v[82:83], v[18:19], v[56:57], v[179:180]
	;; [unrolled: 1-line block ×3, first 2 shown]
	v_add_f64 v[149:150], v[116:117], v[74:75]
	v_fma_f64 v[126:127], v[159:160], s[14:15], v[126:127]
	v_add_f64 v[151:152], v[153:154], v[161:162]
	v_add_f64 v[153:154], v[169:170], v[173:174]
	v_fma_f64 v[159:160], v[120:121], s[6:7], v[175:176]
	v_fma_f64 v[161:162], v[118:119], s[6:7], v[177:178]
	v_add_f64 v[10:11], v[10:11], v[109:110]
	v_fma_f64 v[95:96], v[95:96], v[52:53], v[181:182]
	v_fma_f64 v[80:81], v[120:121], s[2:3], v[80:81]
	;; [unrolled: 1-line block ×3, first 2 shown]
	ds_read2_b64 v[16:19], v137 offset1:125
	v_fma_f64 v[54:55], v[84:85], v[56:57], -v[163:164]
	ds_read2_b64 v[60:63], v143 offset0:122 offset1:247
	s_waitcnt lgkmcnt(0)
	v_fma_f64 v[64:65], v[64:65], -0.5, v[4:5]
	v_fma_f64 v[52:53], v[155:156], v[52:53], -v[167:168]
	v_add_f64 v[56:57], v[88:89], v[107:108]
	v_fma_f64 v[84:85], v[157:158], s[4:5], v[124:125]
	v_add_f64 v[88:89], v[4:5], v[116:117]
	v_fma_f64 v[68:69], v[165:166], s[4:5], v[68:69]
	v_add_f64 v[124:125], v[22:23], -v[28:29]
	v_fma_f64 v[66:67], v[165:166], s[4:5], v[66:67]
	v_fma_f64 v[4:5], v[149:150], -0.5, v[4:5]
	v_add_f64 v[149:150], v[72:73], v[38:39]
	v_fma_f64 v[126:127], v[157:158], s[4:5], v[126:127]
	v_add_f64 v[155:156], v[42:43], -v[30:31]
	v_fma_f64 v[157:158], v[151:152], s[4:5], v[159:160]
	v_fma_f64 v[159:160], v[153:154], s[4:5], v[161:162]
	v_add_f64 v[161:162], v[14:15], v[122:123]
	v_add_f64 v[10:11], v[10:11], v[46:47]
	;; [unrolled: 1-line block ×4, first 2 shown]
	s_barrier
	v_add_f64 v[165:166], v[116:117], -v[44:45]
	v_add_f64 v[167:168], v[74:75], -v[8:9]
	v_add_f64 v[169:170], v[44:45], -v[116:117]
	v_add_f64 v[171:172], v[8:9], -v[74:75]
	buffer_gl0_inv
	v_add_f64 v[179:180], v[34:35], -v[70:71]
	ds_write2_b64 v137, v[56:57], v[84:85] offset1:125
	v_add_f64 v[84:85], v[20:21], -v[58:59]
	ds_write2_b64 v143, v[68:69], v[66:67] offset0:122 offset1:247
	ds_write2_b64 v141, v[126:127], v[10:11] offset0:116 offset1:241
	;; [unrolled: 1-line block ×3, first 2 shown]
	v_fma_f64 v[173:174], v[124:125], s[2:3], v[64:65]
	v_fma_f64 v[56:57], v[149:150], -0.5, v[6:7]
	v_fma_f64 v[10:11], v[118:119], s[14:15], v[80:81]
	v_add_f64 v[80:81], v[26:27], -v[36:37]
	v_fma_f64 v[118:119], v[161:162], -0.5, v[6:7]
	v_add_f64 v[6:7], v[6:7], v[72:73]
	v_fma_f64 v[175:176], v[155:156], s[8:9], v[4:5]
	v_fma_f64 v[68:69], v[120:121], -0.5, v[0:1]
	v_fma_f64 v[120:121], v[163:164], -0.5, v[0:1]
	v_add_f64 v[126:127], v[32:33], -v[52:53]
	v_add_f64 v[0:1], v[0:1], v[34:35]
	v_add_f64 v[88:89], v[88:89], v[44:45]
	v_fma_f64 v[66:67], v[151:152], s[4:5], v[76:77]
	v_add_f64 v[76:77], v[12:13], -v[54:55]
	v_add_f64 v[149:150], v[165:166], v[167:168]
	v_add_f64 v[151:152], v[169:170], v[171:172]
	v_fma_f64 v[4:5], v[155:156], s[2:3], v[4:5]
	v_add_f64 v[161:162], v[14:15], -v[72:73]
	v_add_f64 v[163:164], v[122:123], -v[38:39]
	;; [unrolled: 1-line block ×5, first 2 shown]
	v_fma_f64 v[157:158], v[155:156], s[6:7], v[173:174]
	v_fma_f64 v[165:166], v[84:85], s[8:9], v[56:57]
	;; [unrolled: 1-line block ×3, first 2 shown]
	v_add_f64 v[181:182], v[95:96], -v[82:83]
	v_fma_f64 v[183:184], v[80:81], s[2:3], v[118:119]
	v_add_f64 v[6:7], v[6:7], v[14:15]
	v_fma_f64 v[159:160], v[124:125], s[6:7], v[175:176]
	v_add_f64 v[175:176], v[82:83], -v[95:96]
	v_fma_f64 v[64:65], v[124:125], s[8:9], v[64:65]
	v_fma_f64 v[185:186], v[126:127], s[2:3], v[120:121]
	v_add_f64 v[0:1], v[0:1], v[70:71]
	v_add_f64 v[88:89], v[88:89], v[8:9]
	v_fma_f64 v[118:119], v[80:81], s[8:9], v[118:119]
	v_fma_f64 v[177:178], v[76:77], s[8:9], v[68:69]
	;; [unrolled: 1-line block ×6, first 2 shown]
	v_add_f64 v[124:125], v[16:17], v[86:87]
	v_add_f64 v[173:174], v[101:102], v[90:91]
	v_add_f64 v[48:49], v[86:87], -v[101:102]
	v_add_f64 v[46:47], v[111:112], -v[46:47]
	v_fma_f64 v[153:154], v[149:150], s[4:5], v[157:158]
	v_add_f64 v[157:158], v[161:162], v[163:164]
	v_fma_f64 v[161:162], v[80:81], s[6:7], v[165:166]
	v_fma_f64 v[56:57], v[80:81], s[14:15], v[56:57]
	v_add_f64 v[80:81], v[2:3], -v[107:108]
	v_add_f64 v[107:108], v[167:168], v[169:170]
	v_add_f64 v[6:7], v[6:7], v[122:123]
	v_fma_f64 v[169:170], v[84:85], s[6:7], v[183:184]
	v_add_f64 v[163:164], v[171:172], v[175:176]
	v_add_f64 v[167:168], v[179:180], v[181:182]
	v_fma_f64 v[171:172], v[76:77], s[6:7], v[185:186]
	;; [unrolled: 3-line block ×3, first 2 shown]
	v_fma_f64 v[68:69], v[126:127], s[14:15], v[68:69]
	v_add_f64 v[126:127], v[103:104], -v[90:91]
	v_fma_f64 v[64:65], v[155:156], s[14:15], v[64:65]
	v_fma_f64 v[84:85], v[84:85], s[14:15], v[118:119]
	;; [unrolled: 1-line block ×4, first 2 shown]
	v_add_f64 v[120:121], v[124:125], v[101:102]
	v_fma_f64 v[4:5], v[151:152], s[4:5], v[4:5]
	v_add_f64 v[124:125], v[86:87], v[103:104]
	ds_write2_b64 v146, v[10:11], v[66:67] offset0:104 offset1:229
	v_fma_f64 v[10:11], v[157:158], s[4:5], v[161:162]
	v_fma_f64 v[56:57], v[157:158], s[4:5], v[56:57]
	v_fma_f64 v[2:3], v[173:174], -0.5, v[16:17]
	v_lshl_add_u32 v173, v114, 3, 0
	v_add_f64 v[6:7], v[6:7], v[38:39]
	v_fma_f64 v[155:156], v[107:108], s[4:5], v[169:170]
	v_lshl_add_u32 v160, v113, 3, 0
	v_add_f64 v[74:75], v[116:117], -v[74:75]
	v_fma_f64 v[157:158], v[167:168], s[4:5], v[171:172]
	v_add_f64 v[0:1], v[0:1], v[95:96]
	v_add_nc_u32_e32 v159, 0x2400, v173
	v_add_nc_u32_e32 v161, 0x2c00, v173
	v_fma_f64 v[66:67], v[163:164], s[4:5], v[165:166]
	v_add_f64 v[113:114], v[48:49], v[126:127]
	v_add_nc_u32_e32 v127, 0x4000, v160
	ds_write2_b64 v159, v[88:89], v[153:154] offset0:98 offset1:223
	v_lshl_add_u32 v154, v115, 3, 0
	v_add_nc_u32_e32 v153, 0x3800, v160
	v_fma_f64 v[68:69], v[163:164], s[4:5], v[68:69]
	v_fma_f64 v[84:85], v[107:108], s[4:5], v[84:85]
	v_add_f64 v[107:108], v[120:121], v[90:91]
	v_add_nc_u32_e32 v162, 0x4c00, v154
	v_fma_f64 v[16:17], v[124:125], -0.5, v[16:17]
	v_add_f64 v[88:89], v[97:98], v[50:51]
	v_add_f64 v[120:121], v[78:79], v[40:41]
	ds_write2_b64 v161, v[118:119], v[4:5] offset0:92 offset1:217
	ds_write2_b64 v153, v[6:7], v[155:156] offset0:83 offset1:208
	;; [unrolled: 1-line block ×4, first 2 shown]
	v_add_f64 v[0:1], v[18:19], v[78:79]
	v_fma_f64 v[64:65], v[149:150], s[4:5], v[64:65]
	v_fma_f64 v[76:77], v[167:168], s[4:5], v[76:77]
	v_add_nc_u32_e32 v163, 0x5400, v154
	v_fma_f64 v[151:152], v[80:81], s[8:9], v[2:3]
	ds_write2_b64 v163, v[66:67], v[68:69] offset0:62 offset1:187
	ds_write_b64 v173, v[64:65] offset:14000
	ds_write_b64 v160, v[84:85] offset:19000
	;; [unrolled: 1-line block ×3, first 2 shown]
	v_add_f64 v[4:5], v[42:43], v[30:31]
	v_fma_f64 v[64:65], v[105:106], s[2:3], v[16:17]
	v_fma_f64 v[66:67], v[88:89], -0.5, v[18:19]
	v_fma_f64 v[16:17], v[105:106], s[8:9], v[16:17]
	v_fma_f64 v[76:77], v[80:81], s[2:3], v[2:3]
	v_fma_f64 v[18:19], v[120:121], -0.5, v[18:19]
	v_add_f64 v[84:85], v[99:100], -v[109:110]
	v_add_f64 v[88:89], v[0:1], v[97:98]
	v_fma_f64 v[48:49], v[105:106], s[14:15], v[151:152]
	v_add_f64 v[56:57], v[107:108], v[103:104]
	v_add_f64 v[6:7], v[101:102], -v[86:87]
	v_add_f64 v[10:11], v[90:91], -v[103:104]
	v_add_f64 v[86:87], v[60:61], v[22:23]
	v_add_f64 v[90:91], v[78:79], -v[97:98]
	v_add_f64 v[99:100], v[40:41], -v[50:51]
	;; [unrolled: 1-line block ×4, first 2 shown]
	v_add_f64 v[103:104], v[22:23], v[28:29]
	v_add_f64 v[111:112], v[26:27], v[36:37]
	;; [unrolled: 1-line block ×3, first 2 shown]
	v_add_f64 v[115:116], v[22:23], -v[42:43]
	v_add_f64 v[117:118], v[28:29], -v[30:31]
	v_fma_f64 v[101:102], v[4:5], -0.5, v[60:61]
	v_fma_f64 v[64:65], v[80:81], s[14:15], v[64:65]
	v_fma_f64 v[109:110], v[46:47], s[8:9], v[66:67]
	v_fma_f64 v[80:81], v[80:81], s[6:7], v[16:17]
	v_add_f64 v[16:17], v[20:21], v[58:59]
	v_fma_f64 v[66:67], v[46:47], s[2:3], v[66:67]
	v_fma_f64 v[76:77], v[105:106], s[6:7], v[76:77]
	;; [unrolled: 1-line block ×4, first 2 shown]
	v_add_f64 v[50:51], v[88:89], v[50:51]
	v_add_f64 v[88:89], v[12:13], v[54:55]
	v_add_f64 v[44:45], v[44:45], -v[8:9]
	v_add_f64 v[86:87], v[86:87], v[42:43]
	v_add_f64 v[38:39], v[72:73], -v[38:39]
	;; [unrolled: 2-line block ×3, first 2 shown]
	v_add_f64 v[78:79], v[78:79], v[97:98]
	v_fma_f64 v[60:61], v[103:104], -0.5, v[60:61]
	v_add_f64 v[70:71], v[70:71], -v[82:83]
	v_add_f64 v[34:35], v[34:35], -v[95:96]
	v_add_f64 v[22:23], v[42:43], -v[22:23]
	v_add_f64 v[95:96], v[36:37], -v[58:59]
	v_fma_f64 v[99:100], v[74:75], s[8:9], v[101:102]
	v_fma_f64 v[97:98], v[74:75], s[2:3], v[101:102]
	;; [unrolled: 1-line block ×3, first 2 shown]
	v_add_f64 v[107:108], v[6:7], v[10:11]
	v_fma_f64 v[16:17], v[16:17], -0.5, v[62:63]
	v_fma_f64 v[66:67], v[84:85], s[6:7], v[66:67]
	v_add_f64 v[84:85], v[62:63], v[26:27]
	v_fma_f64 v[101:102], v[46:47], s[14:15], v[105:106]
	v_fma_f64 v[62:63], v[111:112], -0.5, v[62:63]
	v_fma_f64 v[103:104], v[46:47], s[6:7], v[18:19]
	v_add_f64 v[18:19], v[24:25], v[32:33]
	v_fma_f64 v[46:47], v[88:89], -0.5, v[24:25]
	v_fma_f64 v[24:25], v[119:120], -0.5, v[24:25]
	v_add_f64 v[105:106], v[115:116], v[117:118]
	v_add_f64 v[86:87], v[86:87], v[30:31]
	v_add_f64 v[30:31], v[30:31], -v[28:29]
	v_add_f64 v[88:89], v[26:27], -v[20:21]
	v_fma_f64 v[42:43], v[44:45], s[2:3], v[60:61]
	v_fma_f64 v[60:61], v[44:45], s[8:9], v[60:61]
	v_add_f64 v[26:27], v[20:21], -v[26:27]
	v_add_f64 v[111:112], v[58:59], -v[36:37]
	;; [unrolled: 1-line block ×3, first 2 shown]
	v_fma_f64 v[82:83], v[44:45], s[14:15], v[99:100]
	v_add_f64 v[119:120], v[52:53], -v[54:55]
	v_fma_f64 v[97:98], v[44:45], s[6:7], v[97:98]
	v_fma_f64 v[68:69], v[113:114], s[4:5], v[48:49]
	;; [unrolled: 1-line block ×4, first 2 shown]
	v_add_f64 v[84:85], v[84:85], v[20:21]
	s_waitcnt lgkmcnt(0)
	v_fma_f64 v[115:116], v[14:15], s[2:3], v[62:63]
	v_fma_f64 v[62:63], v[14:15], s[8:9], v[62:63]
	v_add_f64 v[121:122], v[18:19], v[12:13]
	v_add_f64 v[12:13], v[12:13], -v[32:33]
	v_add_f64 v[32:33], v[54:55], -v[52:53]
	v_fma_f64 v[123:124], v[70:71], s[2:3], v[24:25]
	v_fma_f64 v[149:150], v[70:71], s[8:9], v[24:25]
	;; [unrolled: 1-line block ×4, first 2 shown]
	v_add_f64 v[30:31], v[22:23], v[30:31]
	v_fma_f64 v[42:43], v[74:75], s[14:15], v[42:43]
	v_fma_f64 v[60:61], v[74:75], s[6:7], v[60:61]
	v_add_f64 v[74:75], v[88:89], v[95:96]
	s_barrier
	buffer_gl0_inv
	ds_read_b64 v[48:49], v137 offset:24000
	ds_read2_b64 v[0:3], v137 offset1:125
	ds_read2_b64 v[4:7], v141 offset0:116 offset1:241
	v_fma_f64 v[88:89], v[14:15], s[14:15], v[99:100]
	v_fma_f64 v[14:15], v[14:15], s[6:7], v[109:110]
	v_add_f64 v[58:59], v[84:85], v[58:59]
	v_add_f64 v[84:85], v[26:27], v[111:112]
	v_fma_f64 v[95:96], v[38:39], s[14:15], v[115:116]
	v_fma_f64 v[38:39], v[38:39], s[6:7], v[62:63]
	v_add_f64 v[54:55], v[121:122], v[54:55]
	v_fma_f64 v[62:63], v[107:108], s[4:5], v[64:65]
	v_add_f64 v[12:13], v[12:13], v[32:33]
	v_fma_f64 v[32:33], v[34:35], s[14:15], v[123:124]
	v_fma_f64 v[34:35], v[34:35], s[6:7], v[149:150]
	v_add_f64 v[64:65], v[117:118], v[119:120]
	v_fma_f64 v[99:100], v[70:71], s[14:15], v[125:126]
	v_fma_f64 v[70:71], v[70:71], s[6:7], v[151:152]
	ds_read2_b64 v[8:11], v138 offset0:98 offset1:223
	ds_read2_b64 v[44:47], v147 offset0:86 offset1:211
	;; [unrolled: 1-line block ×5, first 2 shown]
	v_add_f64 v[50:51], v[50:51], v[40:41]
	v_fma_f64 v[72:73], v[90:91], s[4:5], v[72:73]
	v_fma_f64 v[101:102], v[78:79], s[4:5], v[101:102]
	;; [unrolled: 1-line block ×4, first 2 shown]
	v_add_f64 v[86:87], v[86:87], v[28:29]
	v_fma_f64 v[90:91], v[105:106], s[4:5], v[97:98]
	v_fma_f64 v[97:98], v[30:31], s[4:5], v[42:43]
	;; [unrolled: 1-line block ×3, first 2 shown]
	v_add_f64 v[58:59], v[58:59], v[36:37]
	v_fma_f64 v[88:89], v[74:75], s[4:5], v[88:89]
	v_fma_f64 v[74:75], v[74:75], s[4:5], v[14:15]
	;; [unrolled: 1-line block ×4, first 2 shown]
	v_add_f64 v[52:53], v[54:55], v[52:53]
	v_fma_f64 v[54:55], v[12:13], s[4:5], v[32:33]
	v_fma_f64 v[103:104], v[12:13], s[4:5], v[34:35]
	ds_read2_b64 v[12:15], v143 offset0:122 offset1:247
	ds_read2_b64 v[32:35], v144 offset0:92 offset1:217
	;; [unrolled: 1-line block ×5, first 2 shown]
	v_fma_f64 v[80:81], v[107:108], s[4:5], v[80:81]
	v_fma_f64 v[76:77], v[113:114], s[4:5], v[76:77]
	v_fma_f64 v[82:83], v[105:106], s[4:5], v[82:83]
	v_fma_f64 v[99:100], v[64:65], s[4:5], v[99:100]
	v_fma_f64 v[64:65], v[64:65], s[4:5], v[70:71]
	s_waitcnt lgkmcnt(0)
	s_barrier
	buffer_gl0_inv
	ds_write2_b64 v137, v[56:57], v[68:69] offset1:125
	ds_write2_b64 v143, v[62:63], v[80:81] offset0:122 offset1:247
	ds_write2_b64 v141, v[76:77], v[50:51] offset0:116 offset1:241
	ds_write2_b64 v142, v[72:73], v[101:102] offset0:110 offset1:235
	ds_write2_b64 v146, v[78:79], v[66:67] offset0:104 offset1:229
	ds_write2_b64 v159, v[86:87], v[82:83] offset0:98 offset1:223
	ds_write2_b64 v161, v[97:98], v[60:61] offset0:92 offset1:217
	ds_write_b64 v173, v[90:91] offset:14000
	ds_write2_b64 v153, v[58:59], v[88:89] offset0:83 offset1:208
	ds_write2_b64 v127, v[95:96], v[84:85] offset0:77 offset1:202
	ds_write_b64 v160, v[74:75] offset:19000
	ds_write2_b64 v162, v[52:53], v[99:100] offset0:68 offset1:193
	ds_write2_b64 v163, v[54:55], v[103:104] offset0:62 offset1:187
	ds_write_b64 v154, v[64:65] offset:24000
	s_waitcnt lgkmcnt(0)
	s_barrier
	buffer_gl0_inv
	s_and_saveexec_b32 s0, vcc_lo
	s_cbranch_execz .LBB0_15
; %bb.14:
	v_lshlrev_b32_e32 v91, 2, v135
	v_add_co_u32 v82, vcc_lo, 0x26c0, v93
	v_add_co_ci_u32_e32 v83, vcc_lo, 0, v94, vcc_lo
	v_lshlrev_b64 v[50:51], 4, v[91:92]
	v_lshlrev_b32_e32 v91, 2, v134
	v_mul_lo_u32 v127, s17, v130
	v_mul_hi_u32 v183, 0xd1b71759, v136
	v_add_nc_u32_e32 v203, 0x7d, v136
	v_lshlrev_b64 v[58:59], 4, v[91:92]
	v_add_co_u32 v66, vcc_lo, s12, v50
	v_add_co_ci_u32_e32 v67, vcc_lo, s13, v51, vcc_lo
	v_lshlrev_b32_e32 v91, 2, v133
	v_add_co_u32 v97, vcc_lo, 0x26c0, v66
	v_add_co_ci_u32_e32 v98, vcc_lo, 0, v67, vcc_lo
	v_add_co_u32 v70, vcc_lo, s12, v58
	s_clause 0x1
	global_load_dwordx4 v[50:53], v[82:83], off offset:32
	global_load_dwordx4 v[54:57], v[97:98], off offset:16
	v_add_co_ci_u32_e32 v71, vcc_lo, s13, v59, vcc_lo
	v_add_co_u32 v101, vcc_lo, 0x26c0, v70
	global_load_dwordx4 v[58:61], v[97:98], off offset:32
	v_add_co_ci_u32_e32 v102, vcc_lo, 0, v71, vcc_lo
	v_add_co_u32 v66, vcc_lo, 0x2000, v66
	v_add_co_ci_u32_e32 v67, vcc_lo, 0, v67, vcc_lo
	global_load_dwordx4 v[62:65], v[101:102], off offset:32
	v_add_co_u32 v70, vcc_lo, 0x2000, v70
	global_load_dwordx4 v[66:69], v[66:67], off offset:1728
	v_add_co_ci_u32_e32 v71, vcc_lo, 0, v71, vcc_lo
	v_add_co_u32 v78, vcc_lo, 0x2000, v93
	v_add_co_ci_u32_e32 v79, vcc_lo, 0, v94, vcc_lo
	s_clause 0x1
	global_load_dwordx4 v[70:73], v[70:71], off offset:1728
	global_load_dwordx4 v[74:77], v[82:83], off offset:16
	v_lshlrev_b64 v[84:85], 4, v[91:92]
	global_load_dwordx4 v[78:81], v[78:79], off offset:1728
	v_lshlrev_b32_e32 v91, 2, v132
	v_add_co_u32 v105, vcc_lo, s12, v84
	v_add_co_ci_u32_e32 v106, vcc_lo, s13, v85, vcc_lo
	global_load_dwordx4 v[82:85], v[82:83], off offset:48
	v_add_co_u32 v113, vcc_lo, 0x26c0, v105
	v_add_co_ci_u32_e32 v114, vcc_lo, 0, v106, vcc_lo
	s_clause 0x3
	global_load_dwordx4 v[86:89], v[101:102], off offset:16
	global_load_dwordx4 v[93:96], v[113:114], off offset:16
	;; [unrolled: 1-line block ×4, first 2 shown]
	v_lshlrev_b64 v[90:91], 4, v[91:92]
	v_add_co_u32 v109, vcc_lo, 0x2000, v105
	v_add_co_ci_u32_e32 v110, vcc_lo, 0, v106, vcc_lo
	s_clause 0x2
	global_load_dwordx4 v[105:108], v[113:114], off offset:32
	global_load_dwordx4 v[109:112], v[109:110], off offset:1728
	;; [unrolled: 1-line block ×3, first 2 shown]
	v_add_co_u32 v117, vcc_lo, s12, v90
	v_add_co_ci_u32_e32 v118, vcc_lo, s13, v91, vcc_lo
	v_add_co_u32 v90, vcc_lo, 0x26c0, v117
	v_add_co_ci_u32_e32 v91, vcc_lo, 0, v118, vcc_lo
	;; [unrolled: 2-line block ×3, first 2 shown]
	s_clause 0x3
	global_load_dwordx4 v[117:120], v[90:91], off offset:16
	global_load_dwordx4 v[121:124], v[121:122], off offset:1728
	;; [unrolled: 1-line block ×4, first 2 shown]
	ds_read2_b64 v[153:156], v147 offset0:86 offset1:211
	ds_read2_b64 v[157:160], v148 offset0:74 offset1:199
	ds_read2_b64 v[161:164], v146 offset0:104 offset1:229
	ds_read_b64 v[179:180], v137 offset:24000
	v_mul_lo_u32 v148, s16, v131
	v_mad_u64_u32 v[130:131], null, s16, v130, 0
	ds_read2_b64 v[165:168], v141 offset0:116 offset1:241
	ds_read2_b64 v[169:172], v144 offset0:92 offset1:217
	;; [unrolled: 1-line block ×4, first 2 shown]
	v_add3_u32 v131, v131, v148, v127
	v_lshlrev_b64 v[127:128], 4, v[128:129]
	v_mul_hi_u32 v148, 0xd1b71759, v203
	v_lshlrev_b64 v[129:130], 4, v[130:131]
	v_lshrrev_b32_e32 v204, 9, v148
	s_waitcnt vmcnt(19)
	v_mul_f64 v[90:91], v[46:47], v[52:53]
	s_waitcnt lgkmcnt(7)
	v_mul_f64 v[52:53], v[155:156], v[52:53]
	s_waitcnt vmcnt(18)
	v_mul_f64 v[125:126], v[44:45], v[56:57]
	v_mul_f64 v[56:57], v[153:154], v[56:57]
	s_waitcnt vmcnt(17)
	v_mul_f64 v[177:178], v[42:43], v[60:61]
	s_waitcnt lgkmcnt(6)
	v_mul_f64 v[60:61], v[159:160], v[60:61]
	s_waitcnt vmcnt(16)
	v_mul_f64 v[181:182], v[40:41], v[64:65]
	v_mul_f64 v[64:65], v[157:158], v[64:65]
	v_fma_f64 v[90:91], v[50:51], v[155:156], -v[90:91]
	v_fma_f64 v[155:156], v[46:47], v[50:51], v[52:53]
	v_fma_f64 v[125:126], v[54:55], v[153:154], -v[125:126]
	ds_read2_b64 v[50:53], v142 offset0:110 offset1:235
	v_fma_f64 v[142:143], v[44:45], v[54:55], v[56:57]
	ds_read2_b64 v[44:47], v140 offset0:80 offset1:205
	ds_read2_b64 v[54:57], v138 offset0:98 offset1:223
	;; [unrolled: 1-line block ×3, first 2 shown]
	v_fma_f64 v[153:154], v[58:59], v[159:160], -v[177:178]
	s_waitcnt vmcnt(15)
	v_mul_f64 v[159:160], v[38:39], v[68:69]
	s_waitcnt lgkmcnt(9)
	v_mul_f64 v[68:69], v[163:164], v[68:69]
	s_waitcnt vmcnt(14)
	v_mul_f64 v[177:178], v[36:37], v[72:73]
	v_fma_f64 v[42:43], v[42:43], v[58:59], v[60:61]
	ds_read2_b64 v[58:61], v137 offset1:125
	v_lshrrev_b32_e32 v137, 9, v183
	v_fma_f64 v[157:158], v[62:63], v[157:158], -v[181:182]
	v_fma_f64 v[62:63], v[40:41], v[62:63], v[64:65]
	v_add_co_u32 v40, vcc_lo, s10, v129
	v_add_co_ci_u32_e32 v41, vcc_lo, s11, v130, vcc_lo
	v_mul_f64 v[64:65], v[161:162], v[72:73]
	v_add_co_u32 v40, vcc_lo, v40, v127
	s_waitcnt vmcnt(13)
	v_mul_f64 v[72:73], v[8:9], v[76:77]
	v_add_co_ci_u32_e32 v41, vcc_lo, v41, v128, vcc_lo
	s_waitcnt lgkmcnt(2)
	v_mul_f64 v[76:77], v[54:55], v[76:77]
	s_waitcnt vmcnt(12)
	v_mul_f64 v[127:128], v[6:7], v[80:81]
	v_mul_f64 v[80:81], v[167:168], v[80:81]
	v_mul_u32_u24_e32 v137, 0x271, v137
	v_fma_f64 v[129:130], v[66:67], v[163:164], -v[159:160]
	v_fma_f64 v[38:39], v[38:39], v[66:67], v[68:69]
	s_waitcnt vmcnt(11)
	v_mul_f64 v[66:67], v[16:17], v[84:85]
	s_waitcnt lgkmcnt(1)
	v_mul_f64 v[68:69], v[138:139], v[84:85]
	v_fma_f64 v[84:85], v[70:71], v[161:162], -v[177:178]
	s_waitcnt vmcnt(10)
	v_mul_f64 v[159:160], v[34:35], v[88:89]
	v_mul_f64 v[88:89], v[171:172], v[88:89]
	v_sub_nc_u32_e32 v131, v136, v137
	v_fma_f64 v[36:37], v[36:37], v[70:71], v[64:65]
	s_waitcnt vmcnt(9)
	v_mul_f64 v[64:65], v[32:33], v[95:96]
	v_mul_f64 v[70:71], v[169:170], v[95:96]
	s_waitcnt vmcnt(8)
	v_mul_f64 v[95:96], v[48:49], v[99:100]
	v_fma_f64 v[54:55], v[74:75], v[54:55], -v[72:73]
	v_mul_f64 v[72:73], v[179:180], v[99:100]
	v_fma_f64 v[8:9], v[8:9], v[74:75], v[76:77]
	v_fma_f64 v[76:77], v[78:79], v[167:168], -v[127:128]
	v_fma_f64 v[6:7], v[6:7], v[78:79], v[80:81]
	s_waitcnt vmcnt(7)
	v_mul_f64 v[74:75], v[30:31], v[103:104]
	v_mul_f64 v[78:79], v[146:147], v[103:104]
	s_waitcnt vmcnt(6)
	v_mul_f64 v[80:81], v[26:27], v[107:108]
	v_fma_f64 v[66:67], v[82:83], v[138:139], -v[66:67]
	v_fma_f64 v[16:17], v[16:17], v[82:83], v[68:69]
	s_waitcnt vmcnt(4)
	v_mul_f64 v[82:83], v[28:29], v[115:116]
	v_mul_f64 v[68:69], v[22:23], v[111:112]
	v_fma_f64 v[99:100], v[86:87], v[171:172], -v[159:160]
	v_fma_f64 v[34:35], v[34:35], v[86:87], v[88:89]
	v_mul_f64 v[86:87], v[46:47], v[107:108]
	v_mul_f64 v[88:89], v[144:145], v[115:116]
	;; [unrolled: 1-line block ×3, first 2 shown]
	s_waitcnt vmcnt(3)
	v_mul_f64 v[107:108], v[10:11], v[119:120]
	v_mul_f64 v[115:116], v[56:57], v[119:120]
	v_fma_f64 v[64:65], v[93:94], v[169:170], -v[64:65]
	v_fma_f64 v[32:33], v[32:33], v[93:94], v[70:71]
	v_fma_f64 v[95:96], v[97:98], v[179:180], -v[95:96]
	s_waitcnt vmcnt(2)
	v_mul_f64 v[70:71], v[20:21], v[123:124]
	s_waitcnt vmcnt(1)
	v_mul_f64 v[93:94], v[24:25], v[134:135]
	;; [unrolled: 2-line block ×3, first 2 shown]
	s_waitcnt lgkmcnt(0)
	v_add_f64 v[137:138], v[76:77], v[58:59]
	v_mul_f64 v[119:120], v[44:45], v[134:135]
	v_fma_f64 v[48:49], v[48:49], v[97:98], v[72:73]
	v_mul_f64 v[72:73], v[50:51], v[123:124]
	v_mul_f64 v[97:98], v[140:141], v[151:152]
	v_fma_f64 v[74:75], v[101:102], v[146:147], -v[74:75]
	v_fma_f64 v[30:31], v[30:31], v[101:102], v[78:79]
	v_fma_f64 v[82:83], v[113:114], v[144:145], -v[82:83]
	v_add_f64 v[144:145], v[0:1], v[6:7]
	v_add_f64 v[78:79], v[54:55], -v[76:77]
	v_add_f64 v[101:102], v[90:91], -v[66:67]
	v_fma_f64 v[46:47], v[105:106], v[46:47], -v[80:81]
	v_fma_f64 v[28:29], v[28:29], v[113:114], v[88:89]
	v_add_f64 v[88:89], v[76:77], -v[54:55]
	v_fma_f64 v[26:27], v[26:27], v[105:106], v[86:87]
	v_add_f64 v[80:81], v[54:55], v[90:91]
	v_fma_f64 v[52:53], v[109:110], v[52:53], -v[68:69]
	v_fma_f64 v[22:23], v[22:23], v[109:110], v[103:104]
	v_fma_f64 v[56:57], v[117:118], v[56:57], -v[107:108]
	v_add_f64 v[105:106], v[54:55], -v[90:91]
	v_fma_f64 v[10:11], v[10:11], v[117:118], v[115:116]
	v_add_f64 v[109:110], v[129:130], v[95:96]
	v_add_f64 v[54:55], v[54:55], v[137:138]
	;; [unrolled: 1-line block ×3, first 2 shown]
	v_add_f64 v[123:124], v[8:9], -v[155:156]
	v_add_f64 v[134:135], v[6:7], -v[16:17]
	;; [unrolled: 1-line block ×3, first 2 shown]
	v_add_f64 v[103:104], v[6:7], v[16:17]
	v_add_f64 v[6:7], v[6:7], -v[8:9]
	v_fma_f64 v[50:51], v[121:122], v[50:51], -v[70:71]
	v_add_f64 v[70:71], v[8:9], v[155:156]
	v_add_f64 v[8:9], v[8:9], v[144:145]
	v_lshlrev_b32_e32 v131, 4, v131
	v_add_f64 v[127:128], v[76:77], v[66:67]
	v_add_f64 v[113:114], v[66:67], -v[90:91]
	v_add_f64 v[68:69], v[155:156], -v[16:17]
	v_add_f64 v[107:108], v[16:17], -v[155:156]
	v_add_co_u32 v161, vcc_lo, v40, v131
	v_fma_f64 v[44:45], v[132:133], v[44:45], -v[93:94]
	v_fma_f64 v[93:94], v[149:150], v[140:141], -v[111:112]
	v_fma_f64 v[24:25], v[24:25], v[132:133], v[119:120]
	v_fma_f64 v[20:21], v[20:21], v[121:122], v[72:73]
	;; [unrolled: 1-line block ×3, first 2 shown]
	v_add_f64 v[18:19], v[125:126], -v[129:130]
	v_add_f64 v[97:98], v[153:154], -v[95:96]
	v_add_f64 v[111:112], v[129:130], -v[125:126]
	v_add_f64 v[115:116], v[95:96], -v[153:154]
	v_add_f64 v[119:120], v[129:130], v[165:166]
	v_add_f64 v[121:122], v[142:143], -v[38:39]
	v_add_f64 v[131:132], v[42:43], -v[48:49]
	;; [unrolled: 1-line block ×4, first 2 shown]
	v_add_f64 v[148:149], v[4:5], v[38:39]
	v_add_f64 v[150:151], v[99:100], -v[84:85]
	v_add_f64 v[159:160], v[157:158], -v[74:75]
	v_add_f64 v[163:164], v[84:85], v[74:75]
	v_add_f64 v[171:172], v[99:100], v[157:158]
	;; [unrolled: 1-line block ×8, first 2 shown]
	v_fma_f64 v[109:110], v[109:110], -0.5, v[165:166]
	v_fma_f64 v[117:118], v[117:118], -0.5, v[165:166]
	v_add_f64 v[165:166], v[22:23], v[28:29]
	v_add_f64 v[185:186], v[32:33], v[26:27]
	;; [unrolled: 1-line block ×5, first 2 shown]
	v_add_f64 v[76:77], v[76:77], -v[66:67]
	v_add_f64 v[177:178], v[84:85], v[175:176]
	v_add_f64 v[90:91], v[34:35], -v[36:37]
	v_add_f64 v[155:156], v[62:63], -v[30:31]
	v_add_f64 v[88:89], v[88:89], v[113:114]
	v_add_f64 v[113:114], v[36:37], -v[34:35]
	v_add_f64 v[68:69], v[86:87], v[68:69]
	;; [unrolled: 2-line block ×3, first 2 shown]
	v_add_f64 v[187:188], v[50:51], v[93:94]
	v_add_f64 v[189:190], v[56:57], v[44:45]
	;; [unrolled: 1-line block ×3, first 2 shown]
	v_fma_f64 v[54:55], v[163:164], -0.5, v[175:176]
	v_fma_f64 v[66:67], v[171:172], -0.5, v[175:176]
	;; [unrolled: 1-line block ×4, first 2 shown]
	v_add_f64 v[171:172], v[52:53], v[173:174]
	v_add_f64 v[173:174], v[14:15], v[36:37]
	v_fma_f64 v[127:128], v[127:128], -0.5, v[58:59]
	v_fma_f64 v[58:59], v[80:81], -0.5, v[58:59]
	;; [unrolled: 1-line block ×8, first 2 shown]
	v_add_f64 v[175:176], v[64:65], -v[52:53]
	v_add_f64 v[183:184], v[46:47], -v[82:83]
	;; [unrolled: 1-line block ×3, first 2 shown]
	v_add_f64 v[97:98], v[18:19], v[97:98]
	v_add_f64 v[18:19], v[82:83], -v[46:47]
	v_add_f64 v[111:112], v[111:112], v[115:116]
	v_add_f64 v[115:116], v[32:33], -v[22:23]
	;; [unrolled: 2-line block ×5, first 2 shown]
	v_add_f64 v[119:120], v[125:126], v[119:120]
	v_add_f64 v[148:149], v[142:143], v[148:149]
	v_fma_f64 v[137:138], v[137:138], -0.5, v[4:5]
	v_fma_f64 v[146:147], v[146:147], -0.5, v[4:5]
	v_add_f64 v[4:5], v[8:9], v[16:17]
	v_add_f64 v[8:9], v[20:21], v[72:73]
	;; [unrolled: 1-line block ×3, first 2 shown]
	v_fma_f64 v[179:180], v[187:188], -0.5, v[60:61]
	v_fma_f64 v[181:182], v[189:190], -0.5, v[60:61]
	v_add_f64 v[60:61], v[50:51], v[60:61]
	v_add_f64 v[141:142], v[142:143], -v[42:43]
	v_add_f64 v[125:126], v[125:126], -v[153:154]
	v_add_f64 v[90:91], v[90:91], v[155:156]
	v_add_f64 v[155:156], v[34:35], -v[62:63]
	v_add_f64 v[86:87], v[113:114], v[86:87]
	;; [unrolled: 2-line block ×10, first 2 shown]
	v_fma_f64 v[8:9], v[8:9], -0.5, v[2:3]
	v_fma_f64 v[16:17], v[16:17], -0.5, v[2:3]
	v_add_f64 v[2:3], v[2:3], v[20:21]
	v_add_f64 v[38:39], v[38:39], -v[48:49]
	v_add_f64 v[189:190], v[56:57], -v[44:45]
	;; [unrolled: 1-line block ×4, first 2 shown]
	v_add_f64 v[177:178], v[99:100], v[177:178]
	v_add_f64 v[113:114], v[113:114], v[173:174]
	v_add_f64 v[173:174], v[20:21], -v[72:73]
	v_fma_f64 v[20:21], v[123:124], s[8:9], v[127:128]
	v_add_f64 v[99:100], v[99:100], -v[157:158]
	v_add_f64 v[183:184], v[183:184], v[18:19]
	v_add_f64 v[18:19], v[56:57], v[60:61]
	v_fma_f64 v[56:57], v[123:124], s[2:3], v[127:128]
	v_fma_f64 v[60:61], v[134:135], s[2:3], v[58:59]
	v_add_f64 v[127:128], v[131:132], v[159:160]
	v_fma_f64 v[58:59], v[134:135], s[8:9], v[58:59]
	v_fma_f64 v[159:160], v[76:77], s[2:3], v[0:1]
	v_add_f64 v[52:53], v[52:53], -v[82:83]
	v_add_f64 v[131:132], v[152:153], v[148:149]
	v_fma_f64 v[152:153], v[76:77], s[8:9], v[0:1]
	v_fma_f64 v[148:149], v[105:106], s[2:3], v[80:81]
	;; [unrolled: 1-line block ×3, first 2 shown]
	v_add_f64 v[12:13], v[32:33], v[12:13]
	v_add_f64 v[32:33], v[32:33], -v[26:27]
	v_add_f64 v[84:85], v[84:85], -v[74:75]
	;; [unrolled: 1-line block ×3, first 2 shown]
	v_add_f64 v[22:23], v[64:65], v[171:172]
	v_add_f64 v[64:65], v[64:65], -v[46:47]
	v_add_f64 v[171:172], v[10:11], -v[24:25]
	v_add_f64 v[50:51], v[50:51], -v[93:94]
	v_add_f64 v[10:11], v[10:11], v[2:3]
	v_add_f64 v[2:3], v[95:96], v[119:120]
	v_add_f64 v[0:1], v[42:43], v[48:49]
	v_fma_f64 v[42:43], v[141:142], s[8:9], v[109:110]
	v_fma_f64 v[48:49], v[141:142], s[2:3], v[109:110]
	;; [unrolled: 1-line block ×7, first 2 shown]
	v_add_f64 v[36:37], v[36:37], -v[30:31]
	v_fma_f64 v[152:153], v[105:106], s[14:15], v[152:153]
	v_fma_f64 v[105:106], v[105:106], s[6:7], v[159:160]
	v_add_f64 v[117:118], v[157:158], v[177:178]
	v_add_f64 v[34:35], v[34:35], v[62:63]
	v_fma_f64 v[62:63], v[129:130], s[8:9], v[146:147]
	v_fma_f64 v[145:146], v[129:130], s[2:3], v[146:147]
	;; [unrolled: 1-line block ×13, first 2 shown]
	v_add_f64 v[169:170], v[74:75], -v[157:158]
	v_fma_f64 v[157:158], v[84:85], s[8:9], v[14:15]
	v_fma_f64 v[14:15], v[84:85], s[2:3], v[14:15]
	;; [unrolled: 1-line block ×12, first 2 shown]
	v_add_f64 v[177:178], v[12:13], v[26:27]
	v_add_f64 v[195:196], v[10:11], v[24:25]
	v_fma_f64 v[26:27], v[88:89], s[4:5], v[58:59]
	v_fma_f64 v[24:25], v[107:108], s[4:5], v[105:106]
	;; [unrolled: 1-line block ×3, first 2 shown]
	v_add_f64 v[44:45], v[44:45], v[18:19]
	v_fma_f64 v[42:43], v[38:39], s[6:7], v[42:43]
	v_fma_f64 v[38:39], v[38:39], s[14:15], v[48:49]
	;; [unrolled: 1-line block ×9, first 2 shown]
	v_add_f64 v[10:11], v[74:75], v[117:118]
	v_fma_f64 v[74:75], v[84:85], s[14:15], v[80:81]
	v_fma_f64 v[70:71], v[84:85], s[6:7], v[70:71]
	;; [unrolled: 1-line block ×15, first 2 shown]
	v_add_co_ci_u32_e32 v162, vcc_lo, 0, v41, vcc_lo
	v_add_f64 v[167:168], v[167:168], v[169:170]
	v_add_co_u32 v169, vcc_lo, 0x2000, v161
	v_fma_f64 v[14:15], v[78:79], s[4:5], v[20:21]
	v_fma_f64 v[18:19], v[78:79], s[4:5], v[56:57]
	;; [unrolled: 1-line block ×4, first 2 shown]
	v_add_f64 v[46:47], v[46:47], v[22:23]
	v_fma_f64 v[22:23], v[88:89], s[4:5], v[60:61]
	v_fma_f64 v[20:21], v[107:108], s[4:5], v[152:153]
	v_add_co_ci_u32_e32 v170, vcc_lo, 0, v162, vcc_lo
	v_fma_f64 v[123:124], v[36:37], s[2:3], v[66:67]
	v_fma_f64 v[66:67], v[36:37], s[8:9], v[66:67]
	v_add_f64 v[8:9], v[34:35], v[30:31]
	global_store_dwordx4 v[169:170], v[24:27], off offset:1808
	v_mul_u32_u24_e32 v26, 0x271, v204
	v_add_co_u32 v24, vcc_lo, 0x4800, v161
	v_fma_f64 v[88:89], v[32:33], s[14:15], v[163:164]
	v_fma_f64 v[107:108], v[173:174], s[14:15], v[179:180]
	v_add_f64 v[30:31], v[93:94], v[44:45]
	v_fma_f64 v[93:94], v[50:51], s[14:15], v[137:138]
	v_fma_f64 v[137:138], v[50:51], s[6:7], v[199:200]
	;; [unrolled: 1-line block ×5, first 2 shown]
	v_add_co_ci_u32_e32 v25, vcc_lo, 0, v162, vcc_lo
	v_sub_nc_u32_e32 v90, v203, v26
	v_add_co_u32 v26, vcc_lo, 0x7000, v161
	v_add_co_ci_u32_e32 v27, vcc_lo, 0, v162, vcc_lo
	v_fma_f64 v[74:75], v[143:144], s[4:5], v[101:102]
	v_add_co_u32 v101, vcc_lo, 0x9800, v161
	v_mad_u32_u24 v91, 0xc35, v204, v90
	v_fma_f64 v[34:35], v[97:98], s[4:5], v[42:43]
	v_fma_f64 v[38:39], v[97:98], s[4:5], v[38:39]
	;; [unrolled: 1-line block ×5, first 2 shown]
	v_add_co_ci_u32_e32 v102, vcc_lo, 0, v162, vcc_lo
	global_store_dwordx4 v[161:162], v[4:7], off
	v_add_f64 v[4:5], v[177:178], v[28:29]
	v_add_f64 v[28:29], v[195:196], v[72:73]
	v_fma_f64 v[72:73], v[175:176], s[4:5], v[76:77]
	v_fma_f64 v[76:77], v[185:186], s[4:5], v[78:79]
	v_fma_f64 v[78:79], v[143:144], s[4:5], v[103:104]
	v_add_nc_u32_e32 v103, 0x271, v91
	v_mov_b32_e32 v104, v92
	global_store_dwordx4 v[24:25], v[16:19], off offset:1568
	global_store_dwordx4 v[26:27], v[12:15], off offset:1328
	;; [unrolled: 1-line block ×3, first 2 shown]
	v_add_nc_u32_e32 v20, 0xfa, v136
	v_fma_f64 v[66:67], v[155:156], s[14:15], v[66:67]
	v_add_f64 v[6:7], v[82:83], v[46:47]
	v_fma_f64 v[82:83], v[52:53], s[14:15], v[193:194]
	v_fma_f64 v[105:106], v[173:174], s[6:7], v[48:49]
	v_lshlrev_b64 v[16:17], 4, v[91:92]
	v_fma_f64 v[145:146], v[189:190], s[14:15], v[145:146]
	v_lshlrev_b64 v[12:13], 4, v[103:104]
	v_mul_hi_u32 v21, 0xd1b71759, v20
	v_fma_f64 v[42:43], v[139:140], s[4:5], v[62:63]
	v_fma_f64 v[58:59], v[86:87], s[4:5], v[80:81]
	v_add_co_u32 v14, vcc_lo, v40, v16
	v_add_co_ci_u32_e32 v15, vcc_lo, v41, v17, vcc_lo
	v_fma_f64 v[62:63], v[86:87], s[4:5], v[84:85]
	v_fma_f64 v[80:81], v[185:186], s[4:5], v[88:89]
	;; [unrolled: 1-line block ×4, first 2 shown]
	v_add_co_u32 v12, vcc_lo, v40, v12
	v_add_co_ci_u32_e32 v13, vcc_lo, v41, v13, vcc_lo
	v_add_nc_u32_e32 v18, 0x753, v91
	v_mov_b32_e32 v19, v92
	v_lshrrev_b32_e32 v21, 9, v21
	v_add_nc_u32_e32 v16, 0x4e2, v91
	v_mov_b32_e32 v17, v92
	global_store_dwordx4 v[12:13], v[97:100], off
	v_lshlrev_b64 v[12:13], 4, v[18:19]
	v_mul_u32_u24_e32 v18, 0x271, v21
	global_store_dwordx4 v[14:15], v[28:31], off
	v_lshlrev_b64 v[14:15], 4, v[16:17]
	v_add_nc_u32_e32 v91, 0x9c4, v91
	v_fma_f64 v[64:65], v[167:168], s[4:5], v[66:67]
	v_sub_nc_u32_e32 v18, v20, v18
	v_fma_f64 v[66:67], v[115:116], s[4:5], v[82:83]
	v_fma_f64 v[84:85], v[113:114], s[4:5], v[105:106]
	;; [unrolled: 1-line block ×6, first 2 shown]
	v_add_co_u32 v14, vcc_lo, v40, v14
	v_add_co_ci_u32_e32 v15, vcc_lo, v41, v15, vcc_lo
	v_lshlrev_b64 v[16:17], 4, v[91:92]
	v_mad_u32_u24 v91, 0xc35, v21, v18
	v_fma_f64 v[68:69], v[187:188], s[6:7], v[159:160]
	v_add_co_u32 v12, vcc_lo, v40, v12
	global_store_dwordx4 v[14:15], v[86:89], off
	v_lshlrev_b64 v[14:15], 4, v[91:92]
	v_add_nc_u32_e32 v20, 0x177, v136
	v_add_co_ci_u32_e32 v13, vcc_lo, v41, v13, vcc_lo
	v_add_co_u32 v16, vcc_lo, v40, v16
	v_add_co_ci_u32_e32 v17, vcc_lo, v41, v17, vcc_lo
	v_mul_hi_u32 v21, 0xd1b71759, v20
	v_add_co_u32 v14, vcc_lo, v40, v14
	v_add_co_ci_u32_e32 v15, vcc_lo, v41, v15, vcc_lo
	v_add_nc_u32_e32 v18, 0x271, v91
	global_store_dwordx4 v[12:13], v[82:85], off
	global_store_dwordx4 v[16:17], v[93:96], off
	v_add_nc_u32_e32 v16, 0x4e2, v91
	global_store_dwordx4 v[14:15], v[4:7], off
	v_lshrrev_b32_e32 v14, 9, v21
	v_lshlrev_b64 v[12:13], 4, v[18:19]
	v_mov_b32_e32 v17, v92
	v_fma_f64 v[68:69], v[175:176], s[4:5], v[68:69]
	v_add_nc_u32_e32 v18, 0x753, v91
	v_mul_u32_u24_e32 v15, 0x271, v14
	v_add_nc_u32_e32 v91, 0x9c4, v91
	v_lshlrev_b64 v[4:5], 4, v[16:17]
	v_add_co_u32 v12, vcc_lo, v40, v12
	v_add_co_ci_u32_e32 v13, vcc_lo, v41, v13, vcc_lo
	v_sub_nc_u32_e32 v15, v20, v15
	v_fma_f64 v[133:134], v[36:37], s[6:7], v[133:134]
	v_fma_f64 v[123:124], v[155:156], s[6:7], v[123:124]
	v_lshlrev_b64 v[6:7], 4, v[18:19]
	v_add_co_u32 v4, vcc_lo, v40, v4
	global_store_dwordx4 v[12:13], v[78:81], off
	v_add_co_ci_u32_e32 v5, vcc_lo, v41, v5, vcc_lo
	v_lshlrev_b64 v[12:13], 4, v[91:92]
	v_mad_u32_u24 v91, 0xc35, v14, v15
	v_add_co_u32 v6, vcc_lo, v40, v6
	v_add_co_ci_u32_e32 v7, vcc_lo, v41, v7, vcc_lo
	global_store_dwordx4 v[4:5], v[70:73], off
	v_lshlrev_b64 v[4:5], 4, v[91:92]
	v_add_nc_u32_e32 v16, 0x1f4, v136
	v_add_co_u32 v12, vcc_lo, v40, v12
	v_add_nc_u32_e32 v14, 0x271, v91
	v_mov_b32_e32 v15, v92
	v_add_co_ci_u32_e32 v13, vcc_lo, v41, v13, vcc_lo
	v_mul_hi_u32 v17, 0xd1b71759, v16
	v_add_co_u32 v4, vcc_lo, v40, v4
	global_store_dwordx4 v[6:7], v[66:69], off
	global_store_dwordx4 v[12:13], v[74:77], off
	v_lshlrev_b64 v[6:7], 4, v[14:15]
	v_add_co_ci_u32_e32 v5, vcc_lo, v41, v5, vcc_lo
	v_add_nc_u32_e32 v12, 0x4e2, v91
	v_mov_b32_e32 v13, v92
	v_fma_f64 v[52:53], v[150:151], s[4:5], v[133:134]
	v_add_co_u32 v6, vcc_lo, v40, v6
	global_store_dwordx4 v[4:5], v[8:11], off
	v_lshrrev_b32_e32 v10, 9, v17
	v_fma_f64 v[60:61], v[167:168], s[4:5], v[123:124]
	v_add_co_ci_u32_e32 v7, vcc_lo, v41, v7, vcc_lo
	v_add_nc_u32_e32 v14, 0x753, v91
	v_lshlrev_b64 v[4:5], 4, v[12:13]
	v_add_nc_u32_e32 v91, 0x9c4, v91
	v_mul_u32_u24_e32 v11, 0x271, v10
	global_store_dwordx4 v[6:7], v[62:65], off
	v_lshlrev_b64 v[6:7], 4, v[14:15]
	v_fma_f64 v[48:49], v[111:112], s[4:5], v[109:110]
	v_add_co_u32 v4, vcc_lo, v40, v4
	v_lshlrev_b64 v[8:9], 4, v[91:92]
	v_sub_nc_u32_e32 v11, v16, v11
	v_add_co_ci_u32_e32 v5, vcc_lo, v41, v5, vcc_lo
	v_add_co_u32 v6, vcc_lo, v40, v6
	v_add_co_ci_u32_e32 v7, vcc_lo, v41, v7, vcc_lo
	v_mad_u32_u24 v91, 0xc35, v10, v11
	v_add_co_u32 v8, vcc_lo, v40, v8
	v_add_co_ci_u32_e32 v9, vcc_lo, v41, v9, vcc_lo
	v_add_nc_u32_e32 v10, 0x271, v91
	v_mov_b32_e32 v11, v92
	v_fma_f64 v[46:47], v[139:140], s[4:5], v[125:126]
	global_store_dwordx4 v[4:5], v[54:57], off
	global_store_dwordx4 v[6:7], v[50:53], off
	v_lshlrev_b64 v[4:5], 4, v[91:92]
	v_fma_f64 v[36:37], v[121:122], s[4:5], v[129:130]
	global_store_dwordx4 v[8:9], v[58:61], off
	v_add_nc_u32_e32 v8, 0x4e2, v91
	v_mov_b32_e32 v9, v92
	v_fma_f64 v[32:33], v[121:122], s[4:5], v[119:120]
	v_lshlrev_b64 v[6:7], 4, v[10:11]
	v_add_nc_u32_e32 v10, 0x753, v91
	v_add_co_u32 v4, vcc_lo, v40, v4
	v_lshlrev_b64 v[8:9], 4, v[8:9]
	v_add_nc_u32_e32 v91, 0x9c4, v91
	v_add_co_ci_u32_e32 v5, vcc_lo, v41, v5, vcc_lo
	v_add_co_u32 v6, vcc_lo, v40, v6
	v_lshlrev_b64 v[10:11], 4, v[10:11]
	v_add_co_ci_u32_e32 v7, vcc_lo, v41, v7, vcc_lo
	v_add_co_u32 v8, vcc_lo, v40, v8
	v_lshlrev_b64 v[12:13], 4, v[91:92]
	v_add_co_ci_u32_e32 v9, vcc_lo, v41, v9, vcc_lo
	v_add_co_u32 v10, vcc_lo, v40, v10
	v_add_co_ci_u32_e32 v11, vcc_lo, v41, v11, vcc_lo
	v_add_co_u32 v12, vcc_lo, v40, v12
	v_add_co_ci_u32_e32 v13, vcc_lo, v41, v13, vcc_lo
	global_store_dwordx4 v[4:5], v[0:3], off
	global_store_dwordx4 v[6:7], v[46:49], off
	;; [unrolled: 1-line block ×5, first 2 shown]
.LBB0_15:
	s_endpgm
	.section	.rodata,"a",@progbits
	.p2align	6, 0x0
	.amdhsa_kernel fft_rtc_back_len3125_factors_5_5_5_5_5_wgs_125_tpt_125_halfLds_dp_op_CI_CI_unitstride_sbrr_dirReg
		.amdhsa_group_segment_fixed_size 0
		.amdhsa_private_segment_fixed_size 0
		.amdhsa_kernarg_size 104
		.amdhsa_user_sgpr_count 6
		.amdhsa_user_sgpr_private_segment_buffer 1
		.amdhsa_user_sgpr_dispatch_ptr 0
		.amdhsa_user_sgpr_queue_ptr 0
		.amdhsa_user_sgpr_kernarg_segment_ptr 1
		.amdhsa_user_sgpr_dispatch_id 0
		.amdhsa_user_sgpr_flat_scratch_init 0
		.amdhsa_user_sgpr_private_segment_size 0
		.amdhsa_wavefront_size32 1
		.amdhsa_uses_dynamic_stack 0
		.amdhsa_system_sgpr_private_segment_wavefront_offset 0
		.amdhsa_system_sgpr_workgroup_id_x 1
		.amdhsa_system_sgpr_workgroup_id_y 0
		.amdhsa_system_sgpr_workgroup_id_z 0
		.amdhsa_system_sgpr_workgroup_info 0
		.amdhsa_system_vgpr_workitem_id 0
		.amdhsa_next_free_vgpr 205
		.amdhsa_next_free_sgpr 27
		.amdhsa_reserve_vcc 1
		.amdhsa_reserve_flat_scratch 0
		.amdhsa_float_round_mode_32 0
		.amdhsa_float_round_mode_16_64 0
		.amdhsa_float_denorm_mode_32 3
		.amdhsa_float_denorm_mode_16_64 3
		.amdhsa_dx10_clamp 1
		.amdhsa_ieee_mode 1
		.amdhsa_fp16_overflow 0
		.amdhsa_workgroup_processor_mode 1
		.amdhsa_memory_ordered 1
		.amdhsa_forward_progress 0
		.amdhsa_shared_vgpr_count 0
		.amdhsa_exception_fp_ieee_invalid_op 0
		.amdhsa_exception_fp_denorm_src 0
		.amdhsa_exception_fp_ieee_div_zero 0
		.amdhsa_exception_fp_ieee_overflow 0
		.amdhsa_exception_fp_ieee_underflow 0
		.amdhsa_exception_fp_ieee_inexact 0
		.amdhsa_exception_int_div_zero 0
	.end_amdhsa_kernel
	.text
.Lfunc_end0:
	.size	fft_rtc_back_len3125_factors_5_5_5_5_5_wgs_125_tpt_125_halfLds_dp_op_CI_CI_unitstride_sbrr_dirReg, .Lfunc_end0-fft_rtc_back_len3125_factors_5_5_5_5_5_wgs_125_tpt_125_halfLds_dp_op_CI_CI_unitstride_sbrr_dirReg
                                        ; -- End function
	.section	.AMDGPU.csdata,"",@progbits
; Kernel info:
; codeLenInByte = 21616
; NumSgprs: 29
; NumVgprs: 205
; ScratchSize: 0
; MemoryBound: 1
; FloatMode: 240
; IeeeMode: 1
; LDSByteSize: 0 bytes/workgroup (compile time only)
; SGPRBlocks: 3
; VGPRBlocks: 25
; NumSGPRsForWavesPerEU: 29
; NumVGPRsForWavesPerEU: 205
; Occupancy: 4
; WaveLimiterHint : 1
; COMPUTE_PGM_RSRC2:SCRATCH_EN: 0
; COMPUTE_PGM_RSRC2:USER_SGPR: 6
; COMPUTE_PGM_RSRC2:TRAP_HANDLER: 0
; COMPUTE_PGM_RSRC2:TGID_X_EN: 1
; COMPUTE_PGM_RSRC2:TGID_Y_EN: 0
; COMPUTE_PGM_RSRC2:TGID_Z_EN: 0
; COMPUTE_PGM_RSRC2:TIDIG_COMP_CNT: 0
	.text
	.p2alignl 6, 3214868480
	.fill 48, 4, 3214868480
	.type	__hip_cuid_850ae472091bb429,@object ; @__hip_cuid_850ae472091bb429
	.section	.bss,"aw",@nobits
	.globl	__hip_cuid_850ae472091bb429
__hip_cuid_850ae472091bb429:
	.byte	0                               ; 0x0
	.size	__hip_cuid_850ae472091bb429, 1

	.ident	"AMD clang version 19.0.0git (https://github.com/RadeonOpenCompute/llvm-project roc-6.4.0 25133 c7fe45cf4b819c5991fe208aaa96edf142730f1d)"
	.section	".note.GNU-stack","",@progbits
	.addrsig
	.addrsig_sym __hip_cuid_850ae472091bb429
	.amdgpu_metadata
---
amdhsa.kernels:
  - .args:
      - .actual_access:  read_only
        .address_space:  global
        .offset:         0
        .size:           8
        .value_kind:     global_buffer
      - .offset:         8
        .size:           8
        .value_kind:     by_value
      - .actual_access:  read_only
        .address_space:  global
        .offset:         16
        .size:           8
        .value_kind:     global_buffer
      - .actual_access:  read_only
        .address_space:  global
        .offset:         24
        .size:           8
        .value_kind:     global_buffer
      - .actual_access:  read_only
        .address_space:  global
        .offset:         32
        .size:           8
        .value_kind:     global_buffer
      - .offset:         40
        .size:           8
        .value_kind:     by_value
      - .actual_access:  read_only
        .address_space:  global
        .offset:         48
        .size:           8
        .value_kind:     global_buffer
      - .actual_access:  read_only
        .address_space:  global
        .offset:         56
        .size:           8
        .value_kind:     global_buffer
      - .offset:         64
        .size:           4
        .value_kind:     by_value
      - .actual_access:  read_only
        .address_space:  global
        .offset:         72
        .size:           8
        .value_kind:     global_buffer
      - .actual_access:  read_only
        .address_space:  global
        .offset:         80
        .size:           8
        .value_kind:     global_buffer
      - .actual_access:  read_only
        .address_space:  global
        .offset:         88
        .size:           8
        .value_kind:     global_buffer
      - .actual_access:  write_only
        .address_space:  global
        .offset:         96
        .size:           8
        .value_kind:     global_buffer
    .group_segment_fixed_size: 0
    .kernarg_segment_align: 8
    .kernarg_segment_size: 104
    .language:       OpenCL C
    .language_version:
      - 2
      - 0
    .max_flat_workgroup_size: 125
    .name:           fft_rtc_back_len3125_factors_5_5_5_5_5_wgs_125_tpt_125_halfLds_dp_op_CI_CI_unitstride_sbrr_dirReg
    .private_segment_fixed_size: 0
    .sgpr_count:     29
    .sgpr_spill_count: 0
    .symbol:         fft_rtc_back_len3125_factors_5_5_5_5_5_wgs_125_tpt_125_halfLds_dp_op_CI_CI_unitstride_sbrr_dirReg.kd
    .uniform_work_group_size: 1
    .uses_dynamic_stack: false
    .vgpr_count:     205
    .vgpr_spill_count: 0
    .wavefront_size: 32
    .workgroup_processor_mode: 1
amdhsa.target:   amdgcn-amd-amdhsa--gfx1030
amdhsa.version:
  - 1
  - 2
...

	.end_amdgpu_metadata
